;; amdgpu-corpus repo=ROCm/rocm-libraries kind=compiled arch=gfx906 opt=O3
	.amdgcn_target "amdgcn-amd-amdhsa--gfx906"
	.amdhsa_code_object_version 6
	.text
	.protected	check_numerics_fp32     ; -- Begin function check_numerics_fp32
	.globl	check_numerics_fp32
	.p2align	8
	.type	check_numerics_fp32,@function
check_numerics_fp32:                    ; @check_numerics_fp32
; %bb.0:
	s_load_dword s8, s[4:5], 0x20
	s_add_u32 s0, s4, 32
	s_addc_u32 s1, s5, 0
	v_mov_b32_e32 v6, 0
	v_mov_b32_e32 v4, 0x800000
	s_waitcnt lgkmcnt(0)
	s_cmp_lt_u32 s6, s8
	s_cselect_b32 s2, 12, 18
	s_add_u32 s0, s0, s2
	s_addc_u32 s1, s1, 0
	global_load_ushort v7, v6, s[0:1]
	s_load_dwordx4 s[0:3], s[4:5], 0x8
	v_mov_b32_e32 v3, 0x7f7fffff
	v_mov_b32_e32 v2, v6
	s_waitcnt vmcnt(0)
	v_mul_lo_u32 v1, s6, v7
	v_add_u32_e32 v5, v1, v0
	s_waitcnt lgkmcnt(0)
	v_cmp_gt_u64_e32 vcc, s[0:1], v[5:6]
	v_mov_b32_e32 v1, v6
	s_and_saveexec_b64 s[6:7], vcc
	s_cbranch_execz .LBB0_10
; %bb.1:
	s_load_dwordx2 s[10:11], s[4:5], 0x0
	v_mul_lo_u32 v7, s8, v7
	v_lshlrev_b64 v[1:2], 2, v[5:6]
	v_mov_b32_e32 v8, 0
	v_mov_b32_e32 v4, 0x800000
	s_waitcnt lgkmcnt(0)
	v_mov_b32_e32 v3, s11
	v_add_co_u32_e32 v9, vcc, s10, v1
	v_lshlrev_b64 v[11:12], 2, v[7:8]
	v_addc_co_u32_e32 v10, vcc, v3, v2, vcc
	v_mov_b32_e32 v3, 0x7f7fffff
	s_mov_b64 s[8:9], 0
	v_mov_b32_e32 v13, 1
	s_movk_i32 s12, 0x204
	v_mov_b32_e32 v1, 0
	v_mov_b32_e32 v2, 0
	s_branch .LBB0_3
.LBB0_2:                                ;   in Loop: Header=BB0_3 Depth=1
	s_or_b64 exec, exec, s[10:11]
	v_add_co_u32_e32 v5, vcc, v5, v7
	v_addc_co_u32_e32 v6, vcc, 0, v6, vcc
	v_cmp_le_u64_e32 vcc, s[0:1], v[5:6]
	v_add_f32_e32 v1, v1, v14
	v_add_f32_e64 v2, v2, |v14|
	v_max_f32_e32 v3, v3, v3
	v_max_f32_e32 v14, v14, v14
	;; [unrolled: 1-line block ×3, first 2 shown]
	s_or_b64 s[8:9], vcc, s[8:9]
	v_add_co_u32_e32 v9, vcc, v9, v11
	v_min_f32_e32 v3, v3, v14
	v_max_f32_e32 v4, v4, v14
	v_addc_co_u32_e32 v10, vcc, v10, v12, vcc
	s_andn2_b64 exec, exec, s[8:9]
	s_cbranch_execz .LBB0_9
.LBB0_3:                                ; =>This Inner Loop Header: Depth=1
	global_load_dword v14, v[9:10], off
	s_waitcnt vmcnt(0)
	v_cmp_eq_f32_e32 vcc, 0, v14
	s_and_saveexec_b64 s[10:11], vcc
	s_cbranch_execnz .LBB0_6
; %bb.4:                                ;   in Loop: Header=BB0_3 Depth=1
	s_or_b64 exec, exec, s[10:11]
	v_cmp_u_f32_e32 vcc, v14, v14
	s_and_saveexec_b64 s[10:11], vcc
	s_cbranch_execnz .LBB0_7
.LBB0_5:                                ;   in Loop: Header=BB0_3 Depth=1
	s_or_b64 exec, exec, s[10:11]
	v_cmp_class_f32_e64 s[14:15], v14, s12
	s_and_saveexec_b64 s[10:11], s[14:15]
	s_cbranch_execz .LBB0_2
	s_branch .LBB0_8
.LBB0_6:                                ;   in Loop: Header=BB0_3 Depth=1
	global_store_dword v8, v13, s[2:3] offset:16
	s_or_b64 exec, exec, s[10:11]
	v_cmp_u_f32_e32 vcc, v14, v14
	s_and_saveexec_b64 s[10:11], vcc
	s_cbranch_execz .LBB0_5
.LBB0_7:                                ;   in Loop: Header=BB0_3 Depth=1
	global_store_dword v8, v13, s[2:3] offset:20
	s_or_b64 exec, exec, s[10:11]
	v_cmp_class_f32_e64 s[14:15], v14, s12
	s_and_saveexec_b64 s[10:11], s[14:15]
	s_cbranch_execz .LBB0_2
.LBB0_8:                                ;   in Loop: Header=BB0_3 Depth=1
	global_store_dword v8, v13, s[2:3] offset:24
	s_branch .LBB0_2
.LBB0_9:
	s_or_b64 exec, exec, s[8:9]
.LBB0_10:
	s_or_b64 exec, exec, s[6:7]
	s_load_dword s0, s[4:5], 0x18
	s_waitcnt lgkmcnt(0)
	s_bitcmp1_b32 s0, 0
	s_cselect_b64 s[0:1], -1, 0
	s_and_b64 vcc, exec, s[0:1]
	s_cbranch_vccz .LBB0_40
; %bb.11:
	s_movk_i32 s0, 0x80
	v_lshlrev_b32_e32 v5, 4, v0
	v_cmp_gt_u32_e32 vcc, s0, v0
	ds_write_b128 v5, v[1:4]
	s_waitcnt vmcnt(0) lgkmcnt(0)
	s_barrier
	s_and_saveexec_b64 s[0:1], vcc
	s_cbranch_execz .LBB0_13
; %bb.12:
	ds_read_b128 v[1:4], v5 offset:2048
	ds_read_b128 v[6:9], v5
	s_waitcnt lgkmcnt(1)
	v_max_f32_e32 v3, v3, v3
	s_waitcnt lgkmcnt(0)
	v_add_f32_e32 v1, v1, v6
	v_max_f32_e32 v6, v8, v8
	v_min_f32_e32 v3, v6, v3
	v_max_f32_e32 v4, v4, v4
	v_max_f32_e32 v6, v9, v9
	v_add_f32_e32 v2, v2, v7
	v_max_f32_e32 v4, v6, v4
	ds_write_b128 v5, v[1:4]
.LBB0_13:
	s_or_b64 exec, exec, s[0:1]
	v_cmp_gt_u32_e32 vcc, 64, v0
	s_waitcnt lgkmcnt(0)
	s_barrier
	s_and_saveexec_b64 s[0:1], vcc
	s_cbranch_execz .LBB0_15
; %bb.14:
	ds_read_b128 v[1:4], v5 offset:1024
	ds_read_b128 v[6:9], v5
	s_waitcnt lgkmcnt(1)
	v_max_f32_e32 v3, v3, v3
	s_waitcnt lgkmcnt(0)
	v_add_f32_e32 v1, v1, v6
	v_max_f32_e32 v6, v8, v8
	v_min_f32_e32 v3, v6, v3
	v_max_f32_e32 v4, v4, v4
	v_max_f32_e32 v6, v9, v9
	v_add_f32_e32 v2, v2, v7
	v_max_f32_e32 v4, v6, v4
	ds_write_b128 v5, v[1:4]
.LBB0_15:
	s_or_b64 exec, exec, s[0:1]
	v_cmp_gt_u32_e32 vcc, 32, v0
	s_waitcnt lgkmcnt(0)
	s_barrier
	s_and_saveexec_b64 s[0:1], vcc
	s_cbranch_execz .LBB0_17
; %bb.16:
	ds_read_b128 v[1:4], v5 offset:512
	ds_read_b128 v[6:9], v5
	s_waitcnt lgkmcnt(1)
	v_max_f32_e32 v3, v3, v3
	s_waitcnt lgkmcnt(0)
	v_add_f32_e32 v1, v1, v6
	v_max_f32_e32 v6, v8, v8
	v_min_f32_e32 v3, v6, v3
	v_max_f32_e32 v4, v4, v4
	v_max_f32_e32 v6, v9, v9
	v_add_f32_e32 v2, v2, v7
	v_max_f32_e32 v4, v6, v4
	ds_write_b128 v5, v[1:4]
.LBB0_17:
	s_or_b64 exec, exec, s[0:1]
	v_cmp_gt_u32_e32 vcc, 16, v0
	s_waitcnt lgkmcnt(0)
	s_barrier
	s_and_saveexec_b64 s[0:1], vcc
	s_cbranch_execz .LBB0_19
; %bb.18:
	ds_read_b128 v[1:4], v5 offset:256
	ds_read_b128 v[6:9], v5
	s_waitcnt lgkmcnt(1)
	v_max_f32_e32 v3, v3, v3
	s_waitcnt lgkmcnt(0)
	v_add_f32_e32 v1, v1, v6
	v_max_f32_e32 v6, v8, v8
	v_min_f32_e32 v3, v6, v3
	v_max_f32_e32 v4, v4, v4
	v_max_f32_e32 v6, v9, v9
	v_add_f32_e32 v2, v2, v7
	v_max_f32_e32 v4, v6, v4
	ds_write_b128 v5, v[1:4]
.LBB0_19:
	s_or_b64 exec, exec, s[0:1]
	v_cmp_gt_u32_e32 vcc, 8, v0
	s_waitcnt lgkmcnt(0)
	s_barrier
	s_and_saveexec_b64 s[0:1], vcc
	s_cbranch_execz .LBB0_21
; %bb.20:
	ds_read_b128 v[1:4], v5 offset:128
	ds_read_b128 v[6:9], v5
	s_waitcnt lgkmcnt(1)
	v_max_f32_e32 v3, v3, v3
	s_waitcnt lgkmcnt(0)
	v_add_f32_e32 v1, v1, v6
	v_max_f32_e32 v6, v8, v8
	v_min_f32_e32 v3, v6, v3
	v_max_f32_e32 v4, v4, v4
	v_max_f32_e32 v6, v9, v9
	v_add_f32_e32 v2, v2, v7
	v_max_f32_e32 v4, v6, v4
	ds_write_b128 v5, v[1:4]
.LBB0_21:
	s_or_b64 exec, exec, s[0:1]
	v_cmp_gt_u32_e32 vcc, 4, v0
	s_waitcnt lgkmcnt(0)
	s_barrier
	s_and_saveexec_b64 s[0:1], vcc
	s_cbranch_execz .LBB0_23
; %bb.22:
	ds_read_b128 v[1:4], v5 offset:64
	ds_read_b128 v[6:9], v5
	s_waitcnt lgkmcnt(1)
	v_max_f32_e32 v3, v3, v3
	s_waitcnt lgkmcnt(0)
	v_add_f32_e32 v1, v1, v6
	v_max_f32_e32 v6, v8, v8
	v_min_f32_e32 v3, v6, v3
	v_max_f32_e32 v4, v4, v4
	v_max_f32_e32 v6, v9, v9
	v_add_f32_e32 v2, v2, v7
	v_max_f32_e32 v4, v6, v4
	ds_write_b128 v5, v[1:4]
.LBB0_23:
	s_or_b64 exec, exec, s[0:1]
	v_cmp_gt_u32_e32 vcc, 2, v0
	s_waitcnt lgkmcnt(0)
	s_barrier
	s_and_saveexec_b64 s[0:1], vcc
	s_cbranch_execz .LBB0_25
; %bb.24:
	ds_read_b128 v[1:4], v5
	ds_read_b128 v[6:9], v5 offset:32
	s_waitcnt lgkmcnt(1)
	v_max_f32_e32 v3, v3, v3
	s_waitcnt lgkmcnt(0)
	v_add_f32_e32 v1, v6, v1
	v_max_f32_e32 v6, v8, v8
	v_min_f32_e32 v3, v3, v6
	v_max_f32_e32 v6, v9, v9
	v_max_f32_e32 v4, v4, v4
	v_add_f32_e32 v2, v7, v2
	v_max_f32_e32 v4, v4, v6
	ds_write_b128 v5, v[1:4]
.LBB0_25:
	s_or_b64 exec, exec, s[0:1]
	v_cmp_eq_u32_e32 vcc, 0, v0
	s_waitcnt lgkmcnt(0)
	s_barrier
	s_and_saveexec_b64 s[0:1], vcc
	s_cbranch_execz .LBB0_27
; %bb.26:
	ds_read_b128 v[0:3], v5
	ds_read_b128 v[6:9], v5 offset:16
	s_waitcnt lgkmcnt(1)
	v_max_f32_e32 v2, v2, v2
	s_waitcnt lgkmcnt(0)
	v_max_f32_e32 v4, v8, v8
	v_min_f32_e32 v2, v2, v4
	v_max_f32_e32 v4, v9, v9
	v_max_f32_e32 v3, v3, v3
	v_add_f32_e32 v0, v6, v0
	v_add_f32_e32 v1, v7, v1
	v_max_f32_e32 v3, v3, v4
	ds_write_b128 v5, v[0:3]
.LBB0_27:
	s_or_b64 exec, exec, s[0:1]
	s_waitcnt lgkmcnt(0)
	s_barrier
	s_and_saveexec_b64 s[0:1], vcc
	s_cbranch_execz .LBB0_40
; %bb.28:
	s_mov_b64 s[4:5], exec
	v_mbcnt_lo_u32_b32 v0, s4, 0
	v_mbcnt_hi_u32_b32 v0, s5, v0
	v_cmp_eq_u32_e32 vcc, 0, v0
	s_and_saveexec_b64 s[0:1], vcc
	s_cbranch_execz .LBB0_31
; %bb.29:
	v_mov_b32_e32 v2, 0
	ds_read_b32 v0, v2
	s_load_dword s6, s[2:3], 0x0
	s_bcnt1_i32_b64 s7, s[4:5]
	v_cvt_f32_ubyte0_e32 v1, s7
	s_mov_b64 s[4:5], 0
	s_waitcnt lgkmcnt(0)
	v_mul_f32_e32 v3, v0, v1
	v_mov_b32_e32 v1, s6
.LBB0_30:                               ; =>This Inner Loop Header: Depth=1
	v_add_f32_e32 v0, v1, v3
	global_atomic_cmpswap v0, v2, v[0:1], s[2:3] glc
	s_waitcnt vmcnt(0)
	v_cmp_eq_u32_e32 vcc, v0, v1
	s_or_b64 s[4:5], vcc, s[4:5]
	v_mov_b32_e32 v1, v0
	s_andn2_b64 exec, exec, s[4:5]
	s_cbranch_execnz .LBB0_30
.LBB0_31:
	s_or_b64 exec, exec, s[0:1]
	s_mov_b64 s[4:5], exec
	v_mbcnt_lo_u32_b32 v0, s4, 0
	v_mbcnt_hi_u32_b32 v0, s5, v0
	v_cmp_eq_u32_e32 vcc, 0, v0
	s_and_saveexec_b64 s[0:1], vcc
	s_cbranch_execz .LBB0_34
; %bb.32:
	v_mov_b32_e32 v2, 0
	ds_read_b32 v0, v2 offset:4
	s_load_dword s6, s[2:3], 0x4
	s_bcnt1_i32_b64 s7, s[4:5]
	v_cvt_f32_ubyte0_e32 v1, s7
	s_mov_b64 s[4:5], 0
	s_waitcnt lgkmcnt(0)
	v_mul_f32_e32 v3, v0, v1
	v_mov_b32_e32 v1, s6
.LBB0_33:                               ; =>This Inner Loop Header: Depth=1
	v_add_f32_e32 v0, v1, v3
	global_atomic_cmpswap v0, v2, v[0:1], s[2:3] offset:4 glc
	s_waitcnt vmcnt(0)
	v_cmp_eq_u32_e32 vcc, v0, v1
	s_or_b64 s[4:5], vcc, s[4:5]
	v_mov_b32_e32 v1, v0
	s_andn2_b64 exec, exec, s[4:5]
	s_cbranch_execnz .LBB0_33
.LBB0_34:
	s_or_b64 exec, exec, s[0:1]
	v_mbcnt_lo_u32_b32 v0, exec_lo, 0
	v_mbcnt_hi_u32_b32 v0, exec_hi, v0
	v_cmp_eq_u32_e32 vcc, 0, v0
	s_and_saveexec_b64 s[0:1], vcc
	s_cbranch_execz .LBB0_37
; %bb.35:
	v_mov_b32_e32 v2, 0
	s_load_dword s6, s[2:3], 0x8
	ds_read_b32 v0, v2 offset:8
	s_mov_b64 s[4:5], 0
	s_waitcnt lgkmcnt(0)
	v_mov_b32_e32 v1, s6
	v_max_f32_e32 v3, v0, v0
.LBB0_36:                               ; =>This Inner Loop Header: Depth=1
	v_max_f32_e32 v0, v1, v1
	v_min_f32_e32 v0, v0, v3
	global_atomic_cmpswap v0, v2, v[0:1], s[2:3] offset:8 glc
	s_waitcnt vmcnt(0)
	v_cmp_eq_u32_e32 vcc, v0, v1
	s_or_b64 s[4:5], vcc, s[4:5]
	v_mov_b32_e32 v1, v0
	s_andn2_b64 exec, exec, s[4:5]
	s_cbranch_execnz .LBB0_36
.LBB0_37:
	s_or_b64 exec, exec, s[0:1]
	v_mbcnt_lo_u32_b32 v0, exec_lo, 0
	v_mbcnt_hi_u32_b32 v0, exec_hi, v0
	v_cmp_eq_u32_e32 vcc, 0, v0
	s_and_b64 exec, exec, vcc
	s_cbranch_execz .LBB0_40
; %bb.38:
	v_mov_b32_e32 v2, 0
	s_load_dword s4, s[2:3], 0xc
	ds_read_b32 v0, v2 offset:12
	s_mov_b64 s[0:1], 0
	s_waitcnt lgkmcnt(0)
	v_mov_b32_e32 v1, s4
	v_max_f32_e32 v3, v0, v0
.LBB0_39:                               ; =>This Inner Loop Header: Depth=1
	v_max_f32_e32 v0, v1, v1
	v_max_f32_e32 v0, v0, v3
	global_atomic_cmpswap v0, v2, v[0:1], s[2:3] offset:12 glc
	s_waitcnt vmcnt(0)
	v_cmp_eq_u32_e32 vcc, v0, v1
	s_or_b64 s[0:1], vcc, s[0:1]
	v_mov_b32_e32 v1, v0
	s_andn2_b64 exec, exec, s[0:1]
	s_cbranch_execnz .LBB0_39
.LBB0_40:
	s_endpgm
	.section	.rodata,"a",@progbits
	.p2align	6, 0x0
	.amdhsa_kernel check_numerics_fp32
		.amdhsa_group_segment_fixed_size 4096
		.amdhsa_private_segment_fixed_size 0
		.amdhsa_kernarg_size 288
		.amdhsa_user_sgpr_count 6
		.amdhsa_user_sgpr_private_segment_buffer 1
		.amdhsa_user_sgpr_dispatch_ptr 0
		.amdhsa_user_sgpr_queue_ptr 0
		.amdhsa_user_sgpr_kernarg_segment_ptr 1
		.amdhsa_user_sgpr_dispatch_id 0
		.amdhsa_user_sgpr_flat_scratch_init 0
		.amdhsa_user_sgpr_private_segment_size 0
		.amdhsa_uses_dynamic_stack 0
		.amdhsa_system_sgpr_private_segment_wavefront_offset 0
		.amdhsa_system_sgpr_workgroup_id_x 1
		.amdhsa_system_sgpr_workgroup_id_y 0
		.amdhsa_system_sgpr_workgroup_id_z 0
		.amdhsa_system_sgpr_workgroup_info 0
		.amdhsa_system_vgpr_workitem_id 0
		.amdhsa_next_free_vgpr 29
		.amdhsa_next_free_sgpr 61
		.amdhsa_reserve_vcc 1
		.amdhsa_reserve_flat_scratch 0
		.amdhsa_float_round_mode_32 0
		.amdhsa_float_round_mode_16_64 0
		.amdhsa_float_denorm_mode_32 3
		.amdhsa_float_denorm_mode_16_64 3
		.amdhsa_dx10_clamp 1
		.amdhsa_ieee_mode 1
		.amdhsa_fp16_overflow 0
		.amdhsa_exception_fp_ieee_invalid_op 0
		.amdhsa_exception_fp_denorm_src 0
		.amdhsa_exception_fp_ieee_div_zero 0
		.amdhsa_exception_fp_ieee_overflow 0
		.amdhsa_exception_fp_ieee_underflow 0
		.amdhsa_exception_fp_ieee_inexact 0
		.amdhsa_exception_int_div_zero 0
	.end_amdhsa_kernel
	.text
.Lfunc_end0:
	.size	check_numerics_fp32, .Lfunc_end0-check_numerics_fp32
                                        ; -- End function
	.set check_numerics_fp32.num_vgpr, 15
	.set check_numerics_fp32.num_agpr, 0
	.set check_numerics_fp32.numbered_sgpr, 16
	.set check_numerics_fp32.num_named_barrier, 0
	.set check_numerics_fp32.private_seg_size, 0
	.set check_numerics_fp32.uses_vcc, 1
	.set check_numerics_fp32.uses_flat_scratch, 0
	.set check_numerics_fp32.has_dyn_sized_stack, 0
	.set check_numerics_fp32.has_recursion, 0
	.set check_numerics_fp32.has_indirect_call, 0
	.section	.AMDGPU.csdata,"",@progbits
; Kernel info:
; codeLenInByte = 1620
; TotalNumSgprs: 20
; NumVgprs: 15
; ScratchSize: 0
; MemoryBound: 0
; FloatMode: 240
; IeeeMode: 1
; LDSByteSize: 4096 bytes/workgroup (compile time only)
; SGPRBlocks: 8
; VGPRBlocks: 7
; NumSGPRsForWavesPerEU: 65
; NumVGPRsForWavesPerEU: 29
; Occupancy: 8
; WaveLimiterHint : 0
; COMPUTE_PGM_RSRC2:SCRATCH_EN: 0
; COMPUTE_PGM_RSRC2:USER_SGPR: 6
; COMPUTE_PGM_RSRC2:TRAP_HANDLER: 0
; COMPUTE_PGM_RSRC2:TGID_X_EN: 1
; COMPUTE_PGM_RSRC2:TGID_Y_EN: 0
; COMPUTE_PGM_RSRC2:TGID_Z_EN: 0
; COMPUTE_PGM_RSRC2:TIDIG_COMP_CNT: 0
	.text
	.protected	check_numerics_fp16     ; -- Begin function check_numerics_fp16
	.globl	check_numerics_fp16
	.p2align	8
	.type	check_numerics_fp16,@function
check_numerics_fp16:                    ; @check_numerics_fp16
; %bb.0:
	s_load_dword s0, s[4:5], 0x20
	s_load_dwordx4 s[8:11], s[4:5], 0x8
	s_add_u32 s1, s4, 32
	s_addc_u32 s3, s5, 0
	v_mov_b32_e32 v6, 0
	s_waitcnt lgkmcnt(0)
	s_cmp_lt_u32 s6, s0
	s_cselect_b32 s2, 12, 18
	s_add_u32 s2, s1, s2
	s_addc_u32 s3, s3, 0
	global_load_ushort v7, v6, s[2:3]
	v_mov_b32_e32 v1, v6
	v_mov_b32_e32 v2, v6
	;; [unrolled: 1-line block ×3, first 2 shown]
	s_waitcnt vmcnt(0)
	v_mul_lo_u32 v3, s6, v7
	v_add_u32_e32 v5, v3, v0
	v_cmp_gt_u64_e32 vcc, s[8:9], v[5:6]
	v_mov_b32_e32 v3, v6
	s_and_saveexec_b64 s[2:3], vcc
	s_cbranch_execz .LBB1_10
; %bb.1:
	s_load_dwordx2 s[6:7], s[4:5], 0x0
	v_mul_lo_u32 v3, s0, v7
	v_lshlrev_b64 v[1:2], 1, v[5:6]
	v_mov_b32_e32 v4, 0
	v_mov_b32_e32 v11, 1
	s_waitcnt lgkmcnt(0)
	v_mov_b32_e32 v8, s7
	v_add_co_u32_e32 v7, vcc, s6, v1
	v_lshlrev_b64 v[9:10], 1, v[3:4]
	v_addc_co_u32_e32 v8, vcc, v8, v2, vcc
	s_mov_b64 s[6:7], 0
	s_movk_i32 s12, 0x204
	v_mov_b32_e32 v1, 0
	v_mov_b32_e32 v2, 0
	;; [unrolled: 1-line block ×4, first 2 shown]
	s_branch .LBB1_3
.LBB1_2:                                ;   in Loop: Header=BB1_3 Depth=1
	s_or_b64 exec, exec, s[0:1]
	v_cmp_lt_f16_e32 vcc, v12, v14
	v_cndmask_b32_e32 v12, v14, v12, vcc
	v_add_co_u32_e32 v5, vcc, v5, v3
	v_addc_co_u32_e32 v6, vcc, 0, v6, vcc
	v_cmp_le_u64_e32 vcc, s[8:9], v[5:6]
	v_cmp_gt_f16_e64 s[0:1], v13, v14
	s_or_b64 s[6:7], vcc, s[6:7]
	v_add_co_u32_e32 v7, vcc, v7, v9
	v_add_f32_e32 v1, v1, v15
	v_add_f32_e64 v2, v2, |v15|
	v_cndmask_b32_e64 v13, v14, v13, s[0:1]
	v_addc_co_u32_e32 v8, vcc, v8, v10, vcc
	s_andn2_b64 exec, exec, s[6:7]
	s_cbranch_execz .LBB1_9
.LBB1_3:                                ; =>This Inner Loop Header: Depth=1
	global_load_ushort v14, v[7:8], off
	s_waitcnt vmcnt(0)
	v_cmp_eq_f16_e32 vcc, 0, v14
	s_and_saveexec_b64 s[0:1], vcc
	s_cbranch_execz .LBB1_5
; %bb.4:                                ;   in Loop: Header=BB1_3 Depth=1
	global_store_dword v4, v11, s[10:11] offset:16
.LBB1_5:                                ;   in Loop: Header=BB1_3 Depth=1
	s_or_b64 exec, exec, s[0:1]
	v_cmp_u_f16_e32 vcc, v14, v14
	s_and_saveexec_b64 s[0:1], vcc
	s_cbranch_execz .LBB1_7
; %bb.6:                                ;   in Loop: Header=BB1_3 Depth=1
	global_store_dword v4, v11, s[10:11] offset:20
.LBB1_7:                                ;   in Loop: Header=BB1_3 Depth=1
	s_or_b64 exec, exec, s[0:1]
	v_cvt_f32_f16_e32 v15, v14
	v_cmp_class_f32_e64 s[14:15], v15, s12
	s_and_saveexec_b64 s[0:1], s[14:15]
	s_cbranch_execz .LBB1_2
; %bb.8:                                ;   in Loop: Header=BB1_3 Depth=1
	global_store_dword v4, v11, s[10:11] offset:24
	s_branch .LBB1_2
.LBB1_9:
	s_or_b64 exec, exec, s[6:7]
	v_cvt_f32_f16_e32 v3, v12
	v_cvt_f32_f16_e32 v4, v13
.LBB1_10:
	s_or_b64 exec, exec, s[2:3]
	s_load_dword s0, s[4:5], 0x18
	s_waitcnt lgkmcnt(0)
	s_bitcmp1_b32 s0, 0
	s_cselect_b64 s[0:1], -1, 0
	s_and_b64 vcc, exec, s[0:1]
	s_cbranch_vccz .LBB1_40
; %bb.11:
	s_movk_i32 s0, 0x80
	v_lshlrev_b32_e32 v5, 4, v0
	v_cmp_gt_u32_e32 vcc, s0, v0
	ds_write_b128 v5, v[1:4]
	s_waitcnt vmcnt(0) lgkmcnt(0)
	s_barrier
	s_and_saveexec_b64 s[0:1], vcc
	s_cbranch_execz .LBB1_13
; %bb.12:
	ds_read_b128 v[1:4], v5 offset:2048
	ds_read_b128 v[6:9], v5
	s_waitcnt lgkmcnt(1)
	v_max_f32_e32 v3, v3, v3
	s_waitcnt lgkmcnt(0)
	v_add_f32_e32 v1, v1, v6
	v_max_f32_e32 v6, v8, v8
	v_min_f32_e32 v3, v6, v3
	v_max_f32_e32 v4, v4, v4
	v_max_f32_e32 v6, v9, v9
	v_add_f32_e32 v2, v2, v7
	v_max_f32_e32 v4, v6, v4
	ds_write_b128 v5, v[1:4]
.LBB1_13:
	s_or_b64 exec, exec, s[0:1]
	v_cmp_gt_u32_e32 vcc, 64, v0
	s_waitcnt lgkmcnt(0)
	s_barrier
	s_and_saveexec_b64 s[0:1], vcc
	s_cbranch_execz .LBB1_15
; %bb.14:
	ds_read_b128 v[1:4], v5 offset:1024
	ds_read_b128 v[6:9], v5
	s_waitcnt lgkmcnt(1)
	v_max_f32_e32 v3, v3, v3
	s_waitcnt lgkmcnt(0)
	v_add_f32_e32 v1, v1, v6
	v_max_f32_e32 v6, v8, v8
	v_min_f32_e32 v3, v6, v3
	v_max_f32_e32 v4, v4, v4
	v_max_f32_e32 v6, v9, v9
	v_add_f32_e32 v2, v2, v7
	v_max_f32_e32 v4, v6, v4
	ds_write_b128 v5, v[1:4]
.LBB1_15:
	s_or_b64 exec, exec, s[0:1]
	v_cmp_gt_u32_e32 vcc, 32, v0
	s_waitcnt lgkmcnt(0)
	;; [unrolled: 21-line block ×6, first 2 shown]
	s_barrier
	s_and_saveexec_b64 s[0:1], vcc
	s_cbranch_execz .LBB1_25
; %bb.24:
	ds_read_b128 v[1:4], v5
	ds_read_b128 v[6:9], v5 offset:32
	s_waitcnt lgkmcnt(1)
	v_max_f32_e32 v3, v3, v3
	s_waitcnt lgkmcnt(0)
	v_add_f32_e32 v1, v6, v1
	v_max_f32_e32 v6, v8, v8
	v_min_f32_e32 v3, v3, v6
	v_max_f32_e32 v6, v9, v9
	v_max_f32_e32 v4, v4, v4
	v_add_f32_e32 v2, v7, v2
	v_max_f32_e32 v4, v4, v6
	ds_write_b128 v5, v[1:4]
.LBB1_25:
	s_or_b64 exec, exec, s[0:1]
	v_cmp_eq_u32_e32 vcc, 0, v0
	s_waitcnt lgkmcnt(0)
	s_barrier
	s_and_saveexec_b64 s[0:1], vcc
	s_cbranch_execz .LBB1_27
; %bb.26:
	ds_read_b128 v[0:3], v5
	ds_read_b128 v[6:9], v5 offset:16
	s_waitcnt lgkmcnt(1)
	v_max_f32_e32 v2, v2, v2
	s_waitcnt lgkmcnt(0)
	v_max_f32_e32 v4, v8, v8
	v_min_f32_e32 v2, v2, v4
	v_max_f32_e32 v4, v9, v9
	v_max_f32_e32 v3, v3, v3
	v_add_f32_e32 v0, v6, v0
	v_add_f32_e32 v1, v7, v1
	v_max_f32_e32 v3, v3, v4
	ds_write_b128 v5, v[0:3]
.LBB1_27:
	s_or_b64 exec, exec, s[0:1]
	s_waitcnt lgkmcnt(0)
	s_barrier
	s_and_saveexec_b64 s[0:1], vcc
	s_cbranch_execz .LBB1_40
; %bb.28:
	s_mov_b64 s[2:3], exec
	v_mbcnt_lo_u32_b32 v0, s2, 0
	v_mbcnt_hi_u32_b32 v0, s3, v0
	v_cmp_eq_u32_e32 vcc, 0, v0
	s_and_saveexec_b64 s[0:1], vcc
	s_cbranch_execz .LBB1_31
; %bb.29:
	v_mov_b32_e32 v2, 0
	ds_read_b32 v0, v2
	s_load_dword s4, s[10:11], 0x0
	s_bcnt1_i32_b64 s5, s[2:3]
	v_cvt_f32_ubyte0_e32 v1, s5
	s_mov_b64 s[2:3], 0
	s_waitcnt lgkmcnt(0)
	v_mul_f32_e32 v3, v0, v1
	v_mov_b32_e32 v1, s4
.LBB1_30:                               ; =>This Inner Loop Header: Depth=1
	v_add_f32_e32 v0, v1, v3
	global_atomic_cmpswap v0, v2, v[0:1], s[10:11] glc
	s_waitcnt vmcnt(0)
	v_cmp_eq_u32_e32 vcc, v0, v1
	s_or_b64 s[2:3], vcc, s[2:3]
	v_mov_b32_e32 v1, v0
	s_andn2_b64 exec, exec, s[2:3]
	s_cbranch_execnz .LBB1_30
.LBB1_31:
	s_or_b64 exec, exec, s[0:1]
	s_mov_b64 s[2:3], exec
	v_mbcnt_lo_u32_b32 v0, s2, 0
	v_mbcnt_hi_u32_b32 v0, s3, v0
	v_cmp_eq_u32_e32 vcc, 0, v0
	s_and_saveexec_b64 s[0:1], vcc
	s_cbranch_execz .LBB1_34
; %bb.32:
	v_mov_b32_e32 v2, 0
	ds_read_b32 v0, v2 offset:4
	s_load_dword s4, s[10:11], 0x4
	s_bcnt1_i32_b64 s5, s[2:3]
	v_cvt_f32_ubyte0_e32 v1, s5
	s_mov_b64 s[2:3], 0
	s_waitcnt lgkmcnt(0)
	v_mul_f32_e32 v3, v0, v1
	v_mov_b32_e32 v1, s4
.LBB1_33:                               ; =>This Inner Loop Header: Depth=1
	v_add_f32_e32 v0, v1, v3
	global_atomic_cmpswap v0, v2, v[0:1], s[10:11] offset:4 glc
	s_waitcnt vmcnt(0)
	v_cmp_eq_u32_e32 vcc, v0, v1
	s_or_b64 s[2:3], vcc, s[2:3]
	v_mov_b32_e32 v1, v0
	s_andn2_b64 exec, exec, s[2:3]
	s_cbranch_execnz .LBB1_33
.LBB1_34:
	s_or_b64 exec, exec, s[0:1]
	v_mbcnt_lo_u32_b32 v0, exec_lo, 0
	v_mbcnt_hi_u32_b32 v0, exec_hi, v0
	v_cmp_eq_u32_e32 vcc, 0, v0
	s_and_saveexec_b64 s[0:1], vcc
	s_cbranch_execz .LBB1_37
; %bb.35:
	v_mov_b32_e32 v2, 0
	s_load_dword s4, s[10:11], 0x8
	ds_read_b32 v0, v2 offset:8
	s_mov_b64 s[2:3], 0
	s_waitcnt lgkmcnt(0)
	v_mov_b32_e32 v1, s4
	v_max_f32_e32 v3, v0, v0
.LBB1_36:                               ; =>This Inner Loop Header: Depth=1
	v_max_f32_e32 v0, v1, v1
	v_min_f32_e32 v0, v0, v3
	global_atomic_cmpswap v0, v2, v[0:1], s[10:11] offset:8 glc
	s_waitcnt vmcnt(0)
	v_cmp_eq_u32_e32 vcc, v0, v1
	s_or_b64 s[2:3], vcc, s[2:3]
	v_mov_b32_e32 v1, v0
	s_andn2_b64 exec, exec, s[2:3]
	s_cbranch_execnz .LBB1_36
.LBB1_37:
	s_or_b64 exec, exec, s[0:1]
	v_mbcnt_lo_u32_b32 v0, exec_lo, 0
	v_mbcnt_hi_u32_b32 v0, exec_hi, v0
	v_cmp_eq_u32_e32 vcc, 0, v0
	s_and_b64 exec, exec, vcc
	s_cbranch_execz .LBB1_40
; %bb.38:
	v_mov_b32_e32 v2, 0
	s_load_dword s2, s[10:11], 0xc
	ds_read_b32 v0, v2 offset:12
	s_mov_b64 s[0:1], 0
	s_waitcnt lgkmcnt(0)
	v_mov_b32_e32 v1, s2
	v_max_f32_e32 v3, v0, v0
.LBB1_39:                               ; =>This Inner Loop Header: Depth=1
	v_max_f32_e32 v0, v1, v1
	v_max_f32_e32 v0, v0, v3
	global_atomic_cmpswap v0, v2, v[0:1], s[10:11] offset:12 glc
	s_waitcnt vmcnt(0)
	v_cmp_eq_u32_e32 vcc, v0, v1
	s_or_b64 s[0:1], vcc, s[0:1]
	v_mov_b32_e32 v1, v0
	s_andn2_b64 exec, exec, s[0:1]
	s_cbranch_execnz .LBB1_39
.LBB1_40:
	s_endpgm
	.section	.rodata,"a",@progbits
	.p2align	6, 0x0
	.amdhsa_kernel check_numerics_fp16
		.amdhsa_group_segment_fixed_size 4096
		.amdhsa_private_segment_fixed_size 0
		.amdhsa_kernarg_size 288
		.amdhsa_user_sgpr_count 6
		.amdhsa_user_sgpr_private_segment_buffer 1
		.amdhsa_user_sgpr_dispatch_ptr 0
		.amdhsa_user_sgpr_queue_ptr 0
		.amdhsa_user_sgpr_kernarg_segment_ptr 1
		.amdhsa_user_sgpr_dispatch_id 0
		.amdhsa_user_sgpr_flat_scratch_init 0
		.amdhsa_user_sgpr_private_segment_size 0
		.amdhsa_uses_dynamic_stack 0
		.amdhsa_system_sgpr_private_segment_wavefront_offset 0
		.amdhsa_system_sgpr_workgroup_id_x 1
		.amdhsa_system_sgpr_workgroup_id_y 0
		.amdhsa_system_sgpr_workgroup_id_z 0
		.amdhsa_system_sgpr_workgroup_info 0
		.amdhsa_system_vgpr_workitem_id 0
		.amdhsa_next_free_vgpr 29
		.amdhsa_next_free_sgpr 61
		.amdhsa_reserve_vcc 1
		.amdhsa_reserve_flat_scratch 0
		.amdhsa_float_round_mode_32 0
		.amdhsa_float_round_mode_16_64 0
		.amdhsa_float_denorm_mode_32 3
		.amdhsa_float_denorm_mode_16_64 3
		.amdhsa_dx10_clamp 1
		.amdhsa_ieee_mode 1
		.amdhsa_fp16_overflow 0
		.amdhsa_exception_fp_ieee_invalid_op 0
		.amdhsa_exception_fp_denorm_src 0
		.amdhsa_exception_fp_ieee_div_zero 0
		.amdhsa_exception_fp_ieee_overflow 0
		.amdhsa_exception_fp_ieee_underflow 0
		.amdhsa_exception_fp_ieee_inexact 0
		.amdhsa_exception_int_div_zero 0
	.end_amdhsa_kernel
	.text
.Lfunc_end1:
	.size	check_numerics_fp16, .Lfunc_end1-check_numerics_fp16
                                        ; -- End function
	.set check_numerics_fp16.num_vgpr, 16
	.set check_numerics_fp16.num_agpr, 0
	.set check_numerics_fp16.numbered_sgpr, 16
	.set check_numerics_fp16.num_named_barrier, 0
	.set check_numerics_fp16.private_seg_size, 0
	.set check_numerics_fp16.uses_vcc, 1
	.set check_numerics_fp16.uses_flat_scratch, 0
	.set check_numerics_fp16.has_dyn_sized_stack, 0
	.set check_numerics_fp16.has_recursion, 0
	.set check_numerics_fp16.has_indirect_call, 0
	.section	.AMDGPU.csdata,"",@progbits
; Kernel info:
; codeLenInByte = 1576
; TotalNumSgprs: 20
; NumVgprs: 16
; ScratchSize: 0
; MemoryBound: 0
; FloatMode: 240
; IeeeMode: 1
; LDSByteSize: 4096 bytes/workgroup (compile time only)
; SGPRBlocks: 8
; VGPRBlocks: 7
; NumSGPRsForWavesPerEU: 65
; NumVGPRsForWavesPerEU: 29
; Occupancy: 8
; WaveLimiterHint : 0
; COMPUTE_PGM_RSRC2:SCRATCH_EN: 0
; COMPUTE_PGM_RSRC2:USER_SGPR: 6
; COMPUTE_PGM_RSRC2:TRAP_HANDLER: 0
; COMPUTE_PGM_RSRC2:TGID_X_EN: 1
; COMPUTE_PGM_RSRC2:TGID_Y_EN: 0
; COMPUTE_PGM_RSRC2:TGID_Z_EN: 0
; COMPUTE_PGM_RSRC2:TIDIG_COMP_CNT: 0
	.text
	.protected	check_numerics_bf16     ; -- Begin function check_numerics_bf16
	.globl	check_numerics_bf16
	.p2align	8
	.type	check_numerics_bf16,@function
check_numerics_bf16:                    ; @check_numerics_bf16
; %bb.0:
	s_load_dword s0, s[4:5], 0x20
	s_load_dwordx4 s[8:11], s[4:5], 0x8
	s_add_u32 s1, s4, 32
	s_addc_u32 s3, s5, 0
	v_mov_b32_e32 v6, 0
	s_waitcnt lgkmcnt(0)
	s_cmp_lt_u32 s6, s0
	s_cselect_b32 s2, 12, 18
	s_add_u32 s2, s1, s2
	s_addc_u32 s3, s3, 0
	global_load_ushort v7, v6, s[2:3]
	v_mov_b32_e32 v1, v6
	v_mov_b32_e32 v2, v6
	;; [unrolled: 1-line block ×3, first 2 shown]
	s_waitcnt vmcnt(0)
	v_mul_lo_u32 v3, s6, v7
	v_add_u32_e32 v5, v3, v0
	v_cmp_gt_u64_e32 vcc, s[8:9], v[5:6]
	v_mov_b32_e32 v3, v6
	s_and_saveexec_b64 s[2:3], vcc
	s_cbranch_execz .LBB2_10
; %bb.1:
	s_load_dwordx2 s[6:7], s[4:5], 0x0
	v_mul_lo_u32 v3, s0, v7
	v_lshlrev_b64 v[1:2], 1, v[5:6]
	v_mov_b32_e32 v4, 0
	v_mov_b32_e32 v11, 1
	s_waitcnt lgkmcnt(0)
	v_mov_b32_e32 v8, s7
	v_add_co_u32_e32 v7, vcc, s6, v1
	v_lshlrev_b64 v[9:10], 1, v[3:4]
	v_addc_co_u32_e32 v8, vcc, v8, v2, vcc
	s_mov_b64 s[6:7], 0
	s_movk_i32 s12, 0x204
	v_mov_b32_e32 v1, 0
	v_mov_b32_e32 v2, 0
	;; [unrolled: 1-line block ×4, first 2 shown]
	s_branch .LBB2_3
.LBB2_2:                                ;   in Loop: Header=BB2_3 Depth=1
	s_or_b64 exec, exec, s[0:1]
	v_lshlrev_b32_e32 v17, 16, v12
	v_cmp_gt_f32_e32 vcc, v15, v17
	v_cndmask_b32_e32 v12, v14, v12, vcc
	v_add_co_u32_e32 v5, vcc, v5, v3
	v_addc_co_u32_e32 v6, vcc, 0, v6, vcc
	v_cmp_le_u64_e32 vcc, s[8:9], v[5:6]
	v_lshlrev_b32_e32 v16, 16, v13
	v_cmp_lt_f32_e64 s[0:1], v15, v16
	s_or_b64 s[6:7], vcc, s[6:7]
	v_add_co_u32_e32 v7, vcc, v7, v9
	v_add_f32_e32 v1, v1, v15
	v_add_f32_e64 v2, v2, |v15|
	v_cndmask_b32_e64 v13, v14, v13, s[0:1]
	v_addc_co_u32_e32 v8, vcc, v8, v10, vcc
	s_andn2_b64 exec, exec, s[6:7]
	s_cbranch_execz .LBB2_9
.LBB2_3:                                ; =>This Inner Loop Header: Depth=1
	global_load_ushort v14, v[7:8], off
	s_waitcnt vmcnt(0)
	v_lshlrev_b32_e32 v15, 16, v14
	v_cmp_eq_f32_e32 vcc, 0, v15
	s_and_saveexec_b64 s[0:1], vcc
	s_cbranch_execnz .LBB2_6
; %bb.4:                                ;   in Loop: Header=BB2_3 Depth=1
	s_or_b64 exec, exec, s[0:1]
	v_cmp_u_f32_e32 vcc, v15, v15
	s_and_saveexec_b64 s[0:1], vcc
	s_cbranch_execnz .LBB2_7
.LBB2_5:                                ;   in Loop: Header=BB2_3 Depth=1
	s_or_b64 exec, exec, s[0:1]
	v_cmp_class_f32_e64 s[14:15], v15, s12
	s_and_saveexec_b64 s[0:1], s[14:15]
	s_cbranch_execz .LBB2_2
	s_branch .LBB2_8
.LBB2_6:                                ;   in Loop: Header=BB2_3 Depth=1
	global_store_dword v4, v11, s[10:11] offset:16
	s_or_b64 exec, exec, s[0:1]
	v_cmp_u_f32_e32 vcc, v15, v15
	s_and_saveexec_b64 s[0:1], vcc
	s_cbranch_execz .LBB2_5
.LBB2_7:                                ;   in Loop: Header=BB2_3 Depth=1
	global_store_dword v4, v11, s[10:11] offset:20
	s_or_b64 exec, exec, s[0:1]
	v_cmp_class_f32_e64 s[14:15], v15, s12
	s_and_saveexec_b64 s[0:1], s[14:15]
	s_cbranch_execz .LBB2_2
.LBB2_8:                                ;   in Loop: Header=BB2_3 Depth=1
	global_store_dword v4, v11, s[10:11] offset:24
	s_branch .LBB2_2
.LBB2_9:
	s_or_b64 exec, exec, s[6:7]
	v_lshlrev_b32_e32 v3, 16, v12
	v_lshlrev_b32_e32 v4, 16, v13
.LBB2_10:
	s_or_b64 exec, exec, s[2:3]
	s_load_dword s0, s[4:5], 0x18
	s_waitcnt lgkmcnt(0)
	s_bitcmp1_b32 s0, 0
	s_cselect_b64 s[0:1], -1, 0
	s_and_b64 vcc, exec, s[0:1]
	s_cbranch_vccz .LBB2_40
; %bb.11:
	s_movk_i32 s0, 0x80
	v_lshlrev_b32_e32 v5, 4, v0
	v_cmp_gt_u32_e32 vcc, s0, v0
	ds_write_b128 v5, v[1:4]
	s_waitcnt vmcnt(0) lgkmcnt(0)
	s_barrier
	s_and_saveexec_b64 s[0:1], vcc
	s_cbranch_execz .LBB2_13
; %bb.12:
	ds_read_b128 v[1:4], v5 offset:2048
	ds_read_b128 v[6:9], v5
	s_waitcnt lgkmcnt(1)
	v_max_f32_e32 v3, v3, v3
	s_waitcnt lgkmcnt(0)
	v_add_f32_e32 v1, v1, v6
	v_max_f32_e32 v6, v8, v8
	v_min_f32_e32 v3, v6, v3
	v_max_f32_e32 v4, v4, v4
	v_max_f32_e32 v6, v9, v9
	v_add_f32_e32 v2, v2, v7
	v_max_f32_e32 v4, v6, v4
	ds_write_b128 v5, v[1:4]
.LBB2_13:
	s_or_b64 exec, exec, s[0:1]
	v_cmp_gt_u32_e32 vcc, 64, v0
	s_waitcnt lgkmcnt(0)
	s_barrier
	s_and_saveexec_b64 s[0:1], vcc
	s_cbranch_execz .LBB2_15
; %bb.14:
	ds_read_b128 v[1:4], v5 offset:1024
	ds_read_b128 v[6:9], v5
	s_waitcnt lgkmcnt(1)
	v_max_f32_e32 v3, v3, v3
	s_waitcnt lgkmcnt(0)
	v_add_f32_e32 v1, v1, v6
	v_max_f32_e32 v6, v8, v8
	v_min_f32_e32 v3, v6, v3
	v_max_f32_e32 v4, v4, v4
	v_max_f32_e32 v6, v9, v9
	v_add_f32_e32 v2, v2, v7
	v_max_f32_e32 v4, v6, v4
	ds_write_b128 v5, v[1:4]
.LBB2_15:
	s_or_b64 exec, exec, s[0:1]
	v_cmp_gt_u32_e32 vcc, 32, v0
	s_waitcnt lgkmcnt(0)
	;; [unrolled: 21-line block ×6, first 2 shown]
	s_barrier
	s_and_saveexec_b64 s[0:1], vcc
	s_cbranch_execz .LBB2_25
; %bb.24:
	ds_read_b128 v[1:4], v5
	ds_read_b128 v[6:9], v5 offset:32
	s_waitcnt lgkmcnt(1)
	v_max_f32_e32 v3, v3, v3
	s_waitcnt lgkmcnt(0)
	v_add_f32_e32 v1, v6, v1
	v_max_f32_e32 v6, v8, v8
	v_min_f32_e32 v3, v3, v6
	v_max_f32_e32 v6, v9, v9
	v_max_f32_e32 v4, v4, v4
	v_add_f32_e32 v2, v7, v2
	v_max_f32_e32 v4, v4, v6
	ds_write_b128 v5, v[1:4]
.LBB2_25:
	s_or_b64 exec, exec, s[0:1]
	v_cmp_eq_u32_e32 vcc, 0, v0
	s_waitcnt lgkmcnt(0)
	s_barrier
	s_and_saveexec_b64 s[0:1], vcc
	s_cbranch_execz .LBB2_27
; %bb.26:
	ds_read_b128 v[0:3], v5
	ds_read_b128 v[6:9], v5 offset:16
	s_waitcnt lgkmcnt(1)
	v_max_f32_e32 v2, v2, v2
	s_waitcnt lgkmcnt(0)
	v_max_f32_e32 v4, v8, v8
	v_min_f32_e32 v2, v2, v4
	v_max_f32_e32 v4, v9, v9
	v_max_f32_e32 v3, v3, v3
	v_add_f32_e32 v0, v6, v0
	v_add_f32_e32 v1, v7, v1
	v_max_f32_e32 v3, v3, v4
	ds_write_b128 v5, v[0:3]
.LBB2_27:
	s_or_b64 exec, exec, s[0:1]
	s_waitcnt lgkmcnt(0)
	s_barrier
	s_and_saveexec_b64 s[0:1], vcc
	s_cbranch_execz .LBB2_40
; %bb.28:
	s_mov_b64 s[2:3], exec
	v_mbcnt_lo_u32_b32 v0, s2, 0
	v_mbcnt_hi_u32_b32 v0, s3, v0
	v_cmp_eq_u32_e32 vcc, 0, v0
	s_and_saveexec_b64 s[0:1], vcc
	s_cbranch_execz .LBB2_31
; %bb.29:
	v_mov_b32_e32 v2, 0
	ds_read_b32 v0, v2
	s_load_dword s4, s[10:11], 0x0
	s_bcnt1_i32_b64 s5, s[2:3]
	v_cvt_f32_ubyte0_e32 v1, s5
	s_mov_b64 s[2:3], 0
	s_waitcnt lgkmcnt(0)
	v_mul_f32_e32 v3, v0, v1
	v_mov_b32_e32 v1, s4
.LBB2_30:                               ; =>This Inner Loop Header: Depth=1
	v_add_f32_e32 v0, v1, v3
	global_atomic_cmpswap v0, v2, v[0:1], s[10:11] glc
	s_waitcnt vmcnt(0)
	v_cmp_eq_u32_e32 vcc, v0, v1
	s_or_b64 s[2:3], vcc, s[2:3]
	v_mov_b32_e32 v1, v0
	s_andn2_b64 exec, exec, s[2:3]
	s_cbranch_execnz .LBB2_30
.LBB2_31:
	s_or_b64 exec, exec, s[0:1]
	s_mov_b64 s[2:3], exec
	v_mbcnt_lo_u32_b32 v0, s2, 0
	v_mbcnt_hi_u32_b32 v0, s3, v0
	v_cmp_eq_u32_e32 vcc, 0, v0
	s_and_saveexec_b64 s[0:1], vcc
	s_cbranch_execz .LBB2_34
; %bb.32:
	v_mov_b32_e32 v2, 0
	ds_read_b32 v0, v2 offset:4
	s_load_dword s4, s[10:11], 0x4
	s_bcnt1_i32_b64 s5, s[2:3]
	v_cvt_f32_ubyte0_e32 v1, s5
	s_mov_b64 s[2:3], 0
	s_waitcnt lgkmcnt(0)
	v_mul_f32_e32 v3, v0, v1
	v_mov_b32_e32 v1, s4
.LBB2_33:                               ; =>This Inner Loop Header: Depth=1
	v_add_f32_e32 v0, v1, v3
	global_atomic_cmpswap v0, v2, v[0:1], s[10:11] offset:4 glc
	s_waitcnt vmcnt(0)
	v_cmp_eq_u32_e32 vcc, v0, v1
	s_or_b64 s[2:3], vcc, s[2:3]
	v_mov_b32_e32 v1, v0
	s_andn2_b64 exec, exec, s[2:3]
	s_cbranch_execnz .LBB2_33
.LBB2_34:
	s_or_b64 exec, exec, s[0:1]
	v_mbcnt_lo_u32_b32 v0, exec_lo, 0
	v_mbcnt_hi_u32_b32 v0, exec_hi, v0
	v_cmp_eq_u32_e32 vcc, 0, v0
	s_and_saveexec_b64 s[0:1], vcc
	s_cbranch_execz .LBB2_37
; %bb.35:
	v_mov_b32_e32 v2, 0
	s_load_dword s4, s[10:11], 0x8
	ds_read_b32 v0, v2 offset:8
	s_mov_b64 s[2:3], 0
	s_waitcnt lgkmcnt(0)
	v_mov_b32_e32 v1, s4
	v_max_f32_e32 v3, v0, v0
.LBB2_36:                               ; =>This Inner Loop Header: Depth=1
	v_max_f32_e32 v0, v1, v1
	v_min_f32_e32 v0, v0, v3
	global_atomic_cmpswap v0, v2, v[0:1], s[10:11] offset:8 glc
	s_waitcnt vmcnt(0)
	v_cmp_eq_u32_e32 vcc, v0, v1
	s_or_b64 s[2:3], vcc, s[2:3]
	v_mov_b32_e32 v1, v0
	s_andn2_b64 exec, exec, s[2:3]
	s_cbranch_execnz .LBB2_36
.LBB2_37:
	s_or_b64 exec, exec, s[0:1]
	v_mbcnt_lo_u32_b32 v0, exec_lo, 0
	v_mbcnt_hi_u32_b32 v0, exec_hi, v0
	v_cmp_eq_u32_e32 vcc, 0, v0
	s_and_b64 exec, exec, vcc
	s_cbranch_execz .LBB2_40
; %bb.38:
	v_mov_b32_e32 v2, 0
	s_load_dword s2, s[10:11], 0xc
	ds_read_b32 v0, v2 offset:12
	s_mov_b64 s[0:1], 0
	s_waitcnt lgkmcnt(0)
	v_mov_b32_e32 v1, s2
	v_max_f32_e32 v3, v0, v0
.LBB2_39:                               ; =>This Inner Loop Header: Depth=1
	v_max_f32_e32 v0, v1, v1
	v_max_f32_e32 v0, v0, v3
	global_atomic_cmpswap v0, v2, v[0:1], s[10:11] offset:12 glc
	s_waitcnt vmcnt(0)
	v_cmp_eq_u32_e32 vcc, v0, v1
	s_or_b64 s[0:1], vcc, s[0:1]
	v_mov_b32_e32 v1, v0
	s_andn2_b64 exec, exec, s[0:1]
	s_cbranch_execnz .LBB2_39
.LBB2_40:
	s_endpgm
	.section	.rodata,"a",@progbits
	.p2align	6, 0x0
	.amdhsa_kernel check_numerics_bf16
		.amdhsa_group_segment_fixed_size 4096
		.amdhsa_private_segment_fixed_size 0
		.amdhsa_kernarg_size 288
		.amdhsa_user_sgpr_count 6
		.amdhsa_user_sgpr_private_segment_buffer 1
		.amdhsa_user_sgpr_dispatch_ptr 0
		.amdhsa_user_sgpr_queue_ptr 0
		.amdhsa_user_sgpr_kernarg_segment_ptr 1
		.amdhsa_user_sgpr_dispatch_id 0
		.amdhsa_user_sgpr_flat_scratch_init 0
		.amdhsa_user_sgpr_private_segment_size 0
		.amdhsa_uses_dynamic_stack 0
		.amdhsa_system_sgpr_private_segment_wavefront_offset 0
		.amdhsa_system_sgpr_workgroup_id_x 1
		.amdhsa_system_sgpr_workgroup_id_y 0
		.amdhsa_system_sgpr_workgroup_id_z 0
		.amdhsa_system_sgpr_workgroup_info 0
		.amdhsa_system_vgpr_workitem_id 0
		.amdhsa_next_free_vgpr 29
		.amdhsa_next_free_sgpr 61
		.amdhsa_reserve_vcc 1
		.amdhsa_reserve_flat_scratch 0
		.amdhsa_float_round_mode_32 0
		.amdhsa_float_round_mode_16_64 0
		.amdhsa_float_denorm_mode_32 3
		.amdhsa_float_denorm_mode_16_64 3
		.amdhsa_dx10_clamp 1
		.amdhsa_ieee_mode 1
		.amdhsa_fp16_overflow 0
		.amdhsa_exception_fp_ieee_invalid_op 0
		.amdhsa_exception_fp_denorm_src 0
		.amdhsa_exception_fp_ieee_div_zero 0
		.amdhsa_exception_fp_ieee_overflow 0
		.amdhsa_exception_fp_ieee_underflow 0
		.amdhsa_exception_fp_ieee_inexact 0
		.amdhsa_exception_int_div_zero 0
	.end_amdhsa_kernel
	.text
.Lfunc_end2:
	.size	check_numerics_bf16, .Lfunc_end2-check_numerics_bf16
                                        ; -- End function
	.set check_numerics_bf16.num_vgpr, 18
	.set check_numerics_bf16.num_agpr, 0
	.set check_numerics_bf16.numbered_sgpr, 16
	.set check_numerics_bf16.num_named_barrier, 0
	.set check_numerics_bf16.private_seg_size, 0
	.set check_numerics_bf16.uses_vcc, 1
	.set check_numerics_bf16.uses_flat_scratch, 0
	.set check_numerics_bf16.has_dyn_sized_stack, 0
	.set check_numerics_bf16.has_recursion, 0
	.set check_numerics_bf16.has_indirect_call, 0
	.section	.AMDGPU.csdata,"",@progbits
; Kernel info:
; codeLenInByte = 1624
; TotalNumSgprs: 20
; NumVgprs: 18
; ScratchSize: 0
; MemoryBound: 0
; FloatMode: 240
; IeeeMode: 1
; LDSByteSize: 4096 bytes/workgroup (compile time only)
; SGPRBlocks: 8
; VGPRBlocks: 7
; NumSGPRsForWavesPerEU: 65
; NumVGPRsForWavesPerEU: 29
; Occupancy: 8
; WaveLimiterHint : 0
; COMPUTE_PGM_RSRC2:SCRATCH_EN: 0
; COMPUTE_PGM_RSRC2:USER_SGPR: 6
; COMPUTE_PGM_RSRC2:TRAP_HANDLER: 0
; COMPUTE_PGM_RSRC2:TGID_X_EN: 1
; COMPUTE_PGM_RSRC2:TGID_Y_EN: 0
; COMPUTE_PGM_RSRC2:TGID_Z_EN: 0
; COMPUTE_PGM_RSRC2:TIDIG_COMP_CNT: 0
	.text
	.protected	check_numerics_fp8      ; -- Begin function check_numerics_fp8
	.globl	check_numerics_fp8
	.p2align	8
	.type	check_numerics_fp8,@function
check_numerics_fp8:                     ; @check_numerics_fp8
; %bb.0:
	s_load_dword s0, s[4:5], 0x20
	s_load_dwordx4 s[8:11], s[4:5], 0x8
	s_add_u32 s1, s4, 32
	s_addc_u32 s3, s5, 0
	v_mov_b32_e32 v2, 0
	s_waitcnt lgkmcnt(0)
	s_cmp_lt_u32 s6, s0
	s_cselect_b32 s2, 12, 18
	s_add_u32 s2, s1, s2
	s_addc_u32 s3, s3, 0
	global_load_ushort v8, v2, s[2:3]
	v_mov_b32_e32 v6, 8
	v_mov_b32_e32 v7, 0x7f
	;; [unrolled: 1-line block ×3, first 2 shown]
	s_waitcnt vmcnt(0)
	v_mul_lo_u32 v1, s6, v8
	v_add_u32_e32 v1, v1, v0
	v_cmp_gt_u64_e32 vcc, s[8:9], v[1:2]
	s_and_saveexec_b64 s[6:7], vcc
	s_cbranch_execz .LBB3_66
; %bb.1:
	s_load_dwordx2 s[12:13], s[4:5], 0x0
	v_mov_b32_e32 v5, v2
	v_mov_b32_e32 v4, v1
	v_mul_lo_u32 v1, s0, v8
	v_mov_b32_e32 v8, 0
	v_mov_b32_e32 v6, 8
	;; [unrolled: 1-line block ×3, first 2 shown]
	s_mov_b64 s[14:15], 0
	s_waitcnt lgkmcnt(0)
	v_mov_b32_e32 v9, s13
	s_movk_i32 s13, 0x7f
	s_movk_i32 s22, 0x80
	v_mov_b32_e32 v10, 1
	s_movk_i32 s23, 0x204
	v_mov_b32_e32 v11, 0x3b800000
	v_mov_b32_e32 v2, 0
	;; [unrolled: 1-line block ×3, first 2 shown]
	s_branch .LBB3_3
.LBB3_2:                                ;   in Loop: Header=BB3_3 Depth=1
	s_or_b64 exec, exec, s[0:1]
	v_cmp_gt_f32_e32 vcc, v17, v18
	v_cndmask_b32_e32 v6, v12, v6, vcc
	v_cmp_lt_f32_e32 vcc, v15, v16
	v_cndmask_b32_e32 v7, v12, v7, vcc
	v_add_co_u32_e32 v4, vcc, v4, v1
	v_addc_co_u32_e32 v5, vcc, 0, v5, vcc
	v_cmp_le_u64_e32 vcc, s[8:9], v[4:5]
	v_add_f32_e32 v3, v3, v14
	s_or_b64 s[14:15], vcc, s[14:15]
	v_add_f32_e32 v2, v2, v13
	s_andn2_b64 exec, exec, s[14:15]
	s_cbranch_execz .LBB3_65
.LBB3_3:                                ; =>This Inner Loop Header: Depth=1
	v_add_co_u32_e32 v12, vcc, s12, v4
	v_addc_co_u32_e32 v13, vcc, v9, v5, vcc
	global_load_ubyte v12, v[12:13], off
	s_mov_b64 s[0:1], 0
	s_waitcnt vmcnt(0)
	v_cmp_lt_i16_e32 vcc, s13, v12
	s_and_saveexec_b64 s[2:3], vcc
	s_xor_b64 s[2:3], exec, s[2:3]
	s_cbranch_execz .LBB3_7
; %bb.4:                                ;   in Loop: Header=BB3_3 Depth=1
	v_cmp_eq_u16_e32 vcc, s22, v12
	s_mov_b64 s[0:1], -1
	s_and_saveexec_b64 s[16:17], vcc
; %bb.5:                                ;   in Loop: Header=BB3_3 Depth=1
	s_xor_b64 s[0:1], exec, -1
; %bb.6:                                ;   in Loop: Header=BB3_3 Depth=1
	s_or_b64 exec, exec, s[16:17]
	s_and_b64 s[0:1], s[0:1], exec
.LBB3_7:                                ;   in Loop: Header=BB3_3 Depth=1
	s_or_saveexec_b64 s[2:3], s[2:3]
	v_mov_b32_e32 v13, 0x7f800001
	v_cmp_ne_u16_e32 vcc, 0, v12
	s_xor_b64 exec, exec, s[2:3]
; %bb.8:                                ;   in Loop: Header=BB3_3 Depth=1
	s_andn2_b64 s[0:1], s[0:1], exec
	s_and_b64 s[16:17], vcc, exec
	v_mov_b32_e32 v13, 0
	s_or_b64 s[0:1], s[0:1], s[16:17]
; %bb.9:                                ;   in Loop: Header=BB3_3 Depth=1
	s_or_b64 exec, exec, s[2:3]
	s_and_saveexec_b64 s[2:3], s[0:1]
	s_cbranch_execz .LBB3_11
; %bb.10:                               ;   in Loop: Header=BB3_3 Depth=1
	v_and_b32_e32 v14, 0xffff, v12
	v_and_b32_e32 v15, 7, v14
	v_ffbh_u32_e32 v17, v15
	v_subrev_u32_e32 v18, 28, v17
	v_bfe_u32 v16, v14, 3, 4
	v_lshlrev_b32_e32 v14, v18, v14
	v_sub_u32_e32 v17, 29, v17
	v_and_b32_e32 v14, 7, v14
	v_cmp_eq_u32_e64 s[0:1], 0, v16
	v_lshlrev_b32_e32 v13, 24, v12
	v_cndmask_b32_e64 v14, v15, v14, s[0:1]
	v_cndmask_b32_e64 v15, v16, v17, s[0:1]
	v_lshlrev_b32_e32 v14, 20, v14
	v_and_b32_e32 v13, 0x80000000, v13
	v_lshl_add_u32 v15, v15, 23, v11
	v_or3_b32 v13, v13, v15, v14
.LBB3_11:                               ;   in Loop: Header=BB3_3 Depth=1
	s_or_b64 exec, exec, s[2:3]
	v_cmp_lt_i16_e64 s[0:1], s13, v12
	s_mov_b64 s[2:3], 0
	s_and_saveexec_b64 s[16:17], s[0:1]
	s_xor_b64 s[16:17], exec, s[16:17]
	s_cbranch_execnz .LBB3_37
; %bb.12:                               ;   in Loop: Header=BB3_3 Depth=1
	s_or_saveexec_b64 s[0:1], s[16:17]
	v_mov_b32_e32 v14, 0x7f800001
	s_xor_b64 exec, exec, s[0:1]
	s_cbranch_execnz .LBB3_40
.LBB3_13:                               ;   in Loop: Header=BB3_3 Depth=1
	s_or_b64 exec, exec, s[0:1]
	s_and_saveexec_b64 s[16:17], s[2:3]
	s_cbranch_execz .LBB3_15
.LBB3_14:                               ;   in Loop: Header=BB3_3 Depth=1
	v_and_b32_e32 v15, 0xffff, v12
	v_and_b32_e32 v16, 7, v15
	v_ffbh_u32_e32 v18, v16
	v_subrev_u32_e32 v19, 28, v18
	v_bfe_u32 v17, v15, 3, 4
	v_lshlrev_b32_e32 v15, v19, v15
	v_sub_u32_e32 v18, 29, v18
	v_and_b32_e32 v15, 7, v15
	v_cmp_eq_u32_e64 s[0:1], 0, v17
	v_lshlrev_b32_e32 v14, 24, v12
	v_cndmask_b32_e64 v15, v16, v15, s[0:1]
	v_cndmask_b32_e64 v16, v17, v18, s[0:1]
	v_lshlrev_b32_e32 v15, 20, v15
	v_and_b32_e32 v14, 0x80000000, v14
	v_lshl_add_u32 v16, v16, 23, v11
	v_or3_b32 v14, v14, v16, v15
	v_and_b32_e32 v14, 0x7fffffff, v14
.LBB3_15:                               ;   in Loop: Header=BB3_3 Depth=1
	s_or_b64 exec, exec, s[16:17]
	v_cmp_gt_i16_sdwa s[2:3], v7, s13 src0_sel:BYTE_0 src1_sel:DWORD
	s_mov_b64 s[0:1], 0
	s_and_saveexec_b64 s[16:17], s[2:3]
	s_xor_b64 s[2:3], exec, s[16:17]
	s_cbranch_execnz .LBB3_41
; %bb.16:                               ;   in Loop: Header=BB3_3 Depth=1
	s_or_saveexec_b64 s[2:3], s[2:3]
	v_mov_b32_e32 v15, 0x7f800001
	s_xor_b64 exec, exec, s[2:3]
	s_cbranch_execnz .LBB3_44
.LBB3_17:                               ;   in Loop: Header=BB3_3 Depth=1
	s_or_b64 exec, exec, s[2:3]
	s_and_saveexec_b64 s[2:3], s[0:1]
	s_cbranch_execz .LBB3_19
.LBB3_18:                               ;   in Loop: Header=BB3_3 Depth=1
	v_and_b32_e32 v16, 7, v7
	v_ffbh_u32_e32 v17, v16
	v_lshrrev_b16_e32 v15, 3, v7
	v_subrev_u32_e32 v18, 28, v17
	v_and_b32_e32 v15, 15, v15
	v_lshlrev_b32_e32 v18, v18, v7
	v_sub_u32_e32 v17, 29, v17
	v_and_b32_e32 v18, 7, v18
	v_cmp_eq_u32_e64 s[0:1], 0, v15
	v_cndmask_b32_e64 v16, v16, v18, s[0:1]
	v_cndmask_b32_e64 v15, v15, v17, s[0:1]
	v_lshlrev_b32_e32 v17, 24, v7
	v_lshlrev_b32_e32 v16, 20, v16
	v_and_b32_e32 v17, 0x80000000, v17
	v_lshl_add_u32 v15, v15, 23, v11
	v_or3_b32 v15, v17, v15, v16
.LBB3_19:                               ;   in Loop: Header=BB3_3 Depth=1
	s_or_b64 exec, exec, s[2:3]
	v_cmp_lt_i16_e64 s[0:1], s13, v12
	s_mov_b64 s[2:3], 0
	s_and_saveexec_b64 s[16:17], s[0:1]
	s_xor_b64 s[16:17], exec, s[16:17]
	s_cbranch_execnz .LBB3_45
; %bb.20:                               ;   in Loop: Header=BB3_3 Depth=1
	s_or_saveexec_b64 s[0:1], s[16:17]
	v_mov_b32_e32 v16, 0x7f800001
	s_xor_b64 exec, exec, s[0:1]
	s_cbranch_execnz .LBB3_48
.LBB3_21:                               ;   in Loop: Header=BB3_3 Depth=1
	s_or_b64 exec, exec, s[0:1]
	s_and_saveexec_b64 s[16:17], s[2:3]
	s_cbranch_execz .LBB3_23
.LBB3_22:                               ;   in Loop: Header=BB3_3 Depth=1
	v_and_b32_e32 v17, 0xffff, v12
	v_and_b32_e32 v18, 7, v17
	v_ffbh_u32_e32 v20, v18
	v_subrev_u32_e32 v21, 28, v20
	v_bfe_u32 v19, v17, 3, 4
	v_lshlrev_b32_e32 v17, v21, v17
	v_sub_u32_e32 v20, 29, v20
	v_and_b32_e32 v17, 7, v17
	v_cmp_eq_u32_e64 s[0:1], 0, v19
	v_lshlrev_b32_e32 v16, 24, v12
	v_cndmask_b32_e64 v17, v18, v17, s[0:1]
	v_cndmask_b32_e64 v18, v19, v20, s[0:1]
	v_lshlrev_b32_e32 v17, 20, v17
	v_and_b32_e32 v16, 0x80000000, v16
	v_lshl_add_u32 v18, v18, 23, v11
	v_or3_b32 v16, v16, v18, v17
.LBB3_23:                               ;   in Loop: Header=BB3_3 Depth=1
	s_or_b64 exec, exec, s[16:17]
	v_cmp_gt_i16_sdwa s[2:3], v6, s13 src0_sel:BYTE_0 src1_sel:DWORD
	s_mov_b64 s[0:1], 0
	s_and_saveexec_b64 s[16:17], s[2:3]
	s_xor_b64 s[2:3], exec, s[16:17]
	s_cbranch_execnz .LBB3_49
; %bb.24:                               ;   in Loop: Header=BB3_3 Depth=1
	s_or_saveexec_b64 s[2:3], s[2:3]
	v_mov_b32_e32 v17, 0x7f800001
	s_xor_b64 exec, exec, s[2:3]
	s_cbranch_execnz .LBB3_52
.LBB3_25:                               ;   in Loop: Header=BB3_3 Depth=1
	s_or_b64 exec, exec, s[2:3]
	s_and_saveexec_b64 s[2:3], s[0:1]
	s_cbranch_execz .LBB3_27
.LBB3_26:                               ;   in Loop: Header=BB3_3 Depth=1
	v_and_b32_e32 v18, 7, v6
	v_ffbh_u32_e32 v19, v18
	v_lshrrev_b16_e32 v17, 3, v6
	v_subrev_u32_e32 v20, 28, v19
	v_and_b32_e32 v17, 15, v17
	v_lshlrev_b32_e32 v20, v20, v6
	v_sub_u32_e32 v19, 29, v19
	v_and_b32_e32 v20, 7, v20
	v_cmp_eq_u32_e64 s[0:1], 0, v17
	v_cndmask_b32_e64 v18, v18, v20, s[0:1]
	v_cndmask_b32_e64 v17, v17, v19, s[0:1]
	v_lshlrev_b32_e32 v19, 24, v6
	v_lshlrev_b32_e32 v18, 20, v18
	v_and_b32_e32 v19, 0x80000000, v19
	v_lshl_add_u32 v17, v17, 23, v11
	v_or3_b32 v17, v19, v17, v18
.LBB3_27:                               ;   in Loop: Header=BB3_3 Depth=1
	s_or_b64 exec, exec, s[2:3]
	v_cmp_lt_i16_e64 s[0:1], s13, v12
	s_mov_b64 s[2:3], 0
	s_and_saveexec_b64 s[16:17], s[0:1]
	s_xor_b64 s[16:17], exec, s[16:17]
	s_cbranch_execnz .LBB3_53
; %bb.28:                               ;   in Loop: Header=BB3_3 Depth=1
	s_or_saveexec_b64 s[0:1], s[16:17]
	v_mov_b32_e32 v18, 0x7f800001
	s_xor_b64 exec, exec, s[0:1]
	s_cbranch_execnz .LBB3_56
.LBB3_29:                               ;   in Loop: Header=BB3_3 Depth=1
	s_or_b64 exec, exec, s[0:1]
	s_and_saveexec_b64 s[16:17], s[2:3]
	s_cbranch_execnz .LBB3_57
.LBB3_30:                               ;   in Loop: Header=BB3_3 Depth=1
	s_or_b64 exec, exec, s[16:17]
	v_cmp_ge_f32_e64 s[0:1], 0, v14
	s_and_saveexec_b64 s[2:3], s[0:1]
	s_cbranch_execz .LBB3_32
.LBB3_31:                               ;   in Loop: Header=BB3_3 Depth=1
	global_store_dword v8, v10, s[10:11] offset:16
.LBB3_32:                               ;   in Loop: Header=BB3_3 Depth=1
	s_or_b64 exec, exec, s[2:3]
	v_cmp_lt_i16_e64 s[2:3], s13, v12
	s_mov_b64 s[18:19], 0
	v_cmp_ne_u16_e64 s[0:1], s22, v12
	s_mov_b64 s[16:17], 0
	s_and_saveexec_b64 s[20:21], s[2:3]
	s_xor_b64 s[2:3], exec, s[20:21]
	s_cbranch_execnz .LBB3_58
; %bb.33:                               ;   in Loop: Header=BB3_3 Depth=1
	s_andn2_saveexec_b64 s[0:1], s[2:3]
	s_cbranch_execnz .LBB3_59
.LBB3_34:                               ;   in Loop: Header=BB3_3 Depth=1
	s_or_b64 exec, exec, s[0:1]
	s_mov_b64 s[20:21], 0
	s_and_saveexec_b64 s[2:3], s[18:19]
	s_cbranch_execnz .LBB3_60
.LBB3_35:                               ;   in Loop: Header=BB3_3 Depth=1
	s_or_b64 exec, exec, s[2:3]
	s_and_saveexec_b64 s[0:1], s[16:17]
	s_cbranch_execnz .LBB3_61
.LBB3_36:                               ;   in Loop: Header=BB3_3 Depth=1
	s_or_b64 exec, exec, s[0:1]
	s_and_saveexec_b64 s[0:1], s[20:21]
	s_cbranch_execz .LBB3_2
	s_branch .LBB3_62
.LBB3_37:                               ;   in Loop: Header=BB3_3 Depth=1
	v_cmp_eq_u16_e64 s[0:1], s22, v12
	s_mov_b64 s[2:3], -1
	s_and_saveexec_b64 s[18:19], s[0:1]
; %bb.38:                               ;   in Loop: Header=BB3_3 Depth=1
	s_xor_b64 s[2:3], exec, -1
; %bb.39:                               ;   in Loop: Header=BB3_3 Depth=1
	s_or_b64 exec, exec, s[18:19]
	s_and_b64 s[2:3], s[2:3], exec
	s_or_saveexec_b64 s[0:1], s[16:17]
	v_mov_b32_e32 v14, 0x7f800001
	s_xor_b64 exec, exec, s[0:1]
	s_cbranch_execz .LBB3_13
.LBB3_40:                               ;   in Loop: Header=BB3_3 Depth=1
	s_andn2_b64 s[2:3], s[2:3], exec
	s_and_b64 s[16:17], vcc, exec
	v_mov_b32_e32 v14, 0
	s_or_b64 s[2:3], s[2:3], s[16:17]
	s_or_b64 exec, exec, s[0:1]
	s_and_saveexec_b64 s[16:17], s[2:3]
	s_cbranch_execnz .LBB3_14
	s_branch .LBB3_15
.LBB3_41:                               ;   in Loop: Header=BB3_3 Depth=1
	v_cmp_eq_u16_sdwa s[18:19], v7, s22 src0_sel:BYTE_0 src1_sel:DWORD
	s_mov_b64 s[0:1], -1
	s_and_saveexec_b64 s[16:17], s[18:19]
; %bb.42:                               ;   in Loop: Header=BB3_3 Depth=1
	s_xor_b64 s[0:1], exec, -1
; %bb.43:                               ;   in Loop: Header=BB3_3 Depth=1
	s_or_b64 exec, exec, s[16:17]
	s_and_b64 s[0:1], s[0:1], exec
	s_or_saveexec_b64 s[2:3], s[2:3]
	v_mov_b32_e32 v15, 0x7f800001
	s_xor_b64 exec, exec, s[2:3]
	s_cbranch_execz .LBB3_17
.LBB3_44:                               ;   in Loop: Header=BB3_3 Depth=1
	v_cmp_ne_u16_sdwa s[16:17], v7, v8 src0_sel:BYTE_0 src1_sel:DWORD
	s_andn2_b64 s[0:1], s[0:1], exec
	s_and_b64 s[16:17], s[16:17], exec
	v_mov_b32_e32 v15, 0
	s_or_b64 s[0:1], s[0:1], s[16:17]
	s_or_b64 exec, exec, s[2:3]
	s_and_saveexec_b64 s[2:3], s[0:1]
	s_cbranch_execnz .LBB3_18
	s_branch .LBB3_19
.LBB3_45:                               ;   in Loop: Header=BB3_3 Depth=1
	v_cmp_eq_u16_e64 s[0:1], s22, v12
	s_mov_b64 s[2:3], -1
	s_and_saveexec_b64 s[18:19], s[0:1]
; %bb.46:                               ;   in Loop: Header=BB3_3 Depth=1
	s_xor_b64 s[2:3], exec, -1
; %bb.47:                               ;   in Loop: Header=BB3_3 Depth=1
	s_or_b64 exec, exec, s[18:19]
	s_and_b64 s[2:3], s[2:3], exec
	s_or_saveexec_b64 s[0:1], s[16:17]
	v_mov_b32_e32 v16, 0x7f800001
	s_xor_b64 exec, exec, s[0:1]
	s_cbranch_execz .LBB3_21
.LBB3_48:                               ;   in Loop: Header=BB3_3 Depth=1
	s_andn2_b64 s[2:3], s[2:3], exec
	s_and_b64 s[16:17], vcc, exec
	v_mov_b32_e32 v16, 0
	s_or_b64 s[2:3], s[2:3], s[16:17]
	s_or_b64 exec, exec, s[0:1]
	s_and_saveexec_b64 s[16:17], s[2:3]
	s_cbranch_execnz .LBB3_22
	s_branch .LBB3_23
.LBB3_49:                               ;   in Loop: Header=BB3_3 Depth=1
	v_cmp_eq_u16_sdwa s[18:19], v6, s22 src0_sel:BYTE_0 src1_sel:DWORD
	s_mov_b64 s[0:1], -1
	s_and_saveexec_b64 s[16:17], s[18:19]
; %bb.50:                               ;   in Loop: Header=BB3_3 Depth=1
	s_xor_b64 s[0:1], exec, -1
; %bb.51:                               ;   in Loop: Header=BB3_3 Depth=1
	s_or_b64 exec, exec, s[16:17]
	s_and_b64 s[0:1], s[0:1], exec
	s_or_saveexec_b64 s[2:3], s[2:3]
	v_mov_b32_e32 v17, 0x7f800001
	s_xor_b64 exec, exec, s[2:3]
	s_cbranch_execz .LBB3_25
.LBB3_52:                               ;   in Loop: Header=BB3_3 Depth=1
	v_cmp_ne_u16_sdwa s[16:17], v6, v8 src0_sel:BYTE_0 src1_sel:DWORD
	s_andn2_b64 s[0:1], s[0:1], exec
	s_and_b64 s[16:17], s[16:17], exec
	v_mov_b32_e32 v17, 0
	s_or_b64 s[0:1], s[0:1], s[16:17]
	s_or_b64 exec, exec, s[2:3]
	s_and_saveexec_b64 s[2:3], s[0:1]
	s_cbranch_execnz .LBB3_26
	s_branch .LBB3_27
.LBB3_53:                               ;   in Loop: Header=BB3_3 Depth=1
	v_cmp_eq_u16_e64 s[0:1], s22, v12
	s_mov_b64 s[2:3], -1
	s_and_saveexec_b64 s[18:19], s[0:1]
; %bb.54:                               ;   in Loop: Header=BB3_3 Depth=1
	s_xor_b64 s[2:3], exec, -1
; %bb.55:                               ;   in Loop: Header=BB3_3 Depth=1
	s_or_b64 exec, exec, s[18:19]
	s_and_b64 s[2:3], s[2:3], exec
	s_or_saveexec_b64 s[0:1], s[16:17]
	v_mov_b32_e32 v18, 0x7f800001
	s_xor_b64 exec, exec, s[0:1]
	s_cbranch_execz .LBB3_29
.LBB3_56:                               ;   in Loop: Header=BB3_3 Depth=1
	s_andn2_b64 s[2:3], s[2:3], exec
	s_and_b64 s[16:17], vcc, exec
	v_mov_b32_e32 v18, 0
	s_or_b64 s[2:3], s[2:3], s[16:17]
	s_or_b64 exec, exec, s[0:1]
	s_and_saveexec_b64 s[16:17], s[2:3]
	s_cbranch_execz .LBB3_30
.LBB3_57:                               ;   in Loop: Header=BB3_3 Depth=1
	v_and_b32_e32 v19, 0xffff, v12
	v_and_b32_e32 v20, 7, v19
	v_ffbh_u32_e32 v22, v20
	v_subrev_u32_e32 v23, 28, v22
	v_bfe_u32 v21, v19, 3, 4
	v_lshlrev_b32_e32 v19, v23, v19
	v_sub_u32_e32 v22, 29, v22
	v_and_b32_e32 v19, 7, v19
	v_cmp_eq_u32_e64 s[0:1], 0, v21
	v_lshlrev_b32_e32 v18, 24, v12
	v_cndmask_b32_e64 v19, v20, v19, s[0:1]
	v_cndmask_b32_e64 v20, v21, v22, s[0:1]
	v_lshlrev_b32_e32 v19, 20, v19
	v_and_b32_e32 v18, 0x80000000, v18
	v_lshl_add_u32 v20, v20, 23, v11
	v_or3_b32 v18, v18, v20, v19
	s_or_b64 exec, exec, s[16:17]
	v_cmp_ge_f32_e64 s[0:1], 0, v14
	s_and_saveexec_b64 s[2:3], s[0:1]
	s_cbranch_execnz .LBB3_31
	s_branch .LBB3_32
.LBB3_58:                               ;   in Loop: Header=BB3_3 Depth=1
	s_mov_b64 s[16:17], exec
	s_and_b64 s[18:19], s[0:1], exec
	s_andn2_saveexec_b64 s[0:1], s[2:3]
	s_cbranch_execz .LBB3_34
.LBB3_59:                               ;   in Loop: Header=BB3_3 Depth=1
	s_andn2_b64 s[2:3], s[18:19], exec
	s_and_b64 s[18:19], vcc, exec
	s_or_b64 s[18:19], s[2:3], s[18:19]
	s_or_b64 exec, exec, s[0:1]
	s_mov_b64 s[20:21], 0
	s_and_saveexec_b64 s[2:3], s[18:19]
	s_cbranch_execz .LBB3_35
.LBB3_60:                               ;   in Loop: Header=BB3_3 Depth=1
	v_and_b32_e32 v20, 0xffff, v12
	v_and_b32_e32 v21, 7, v20
	v_ffbh_u32_e32 v23, v21
	v_subrev_u32_e32 v24, 28, v23
	v_bfe_u32 v22, v20, 3, 4
	v_lshlrev_b32_e32 v20, v24, v20
	v_sub_u32_e32 v23, 29, v23
	v_and_b32_e32 v20, 7, v20
	v_cmp_eq_u32_e32 vcc, 0, v22
	v_lshlrev_b32_e32 v19, 24, v12
	v_cndmask_b32_e32 v20, v21, v20, vcc
	v_cndmask_b32_e32 v21, v22, v23, vcc
	v_lshlrev_b32_e32 v20, 20, v20
	v_and_b32_e32 v19, 0x80000000, v19
	v_lshl_add_u32 v21, v21, 23, v11
	v_or3_b32 v19, v19, v21, v20
	v_cmp_u_f32_e32 vcc, v19, v19
	v_cmp_o_f32_e64 s[0:1], v19, v19
	s_and_b64 s[20:21], s[0:1], exec
	s_andn2_b64 s[0:1], s[16:17], exec
	s_and_b64 s[16:17], vcc, exec
	s_or_b64 s[16:17], s[0:1], s[16:17]
	s_or_b64 exec, exec, s[2:3]
	s_and_saveexec_b64 s[0:1], s[16:17]
	s_cbranch_execz .LBB3_36
.LBB3_61:                               ;   in Loop: Header=BB3_3 Depth=1
	s_or_b64 s[20:21], s[20:21], exec
	global_store_dword v8, v10, s[10:11] offset:20
	s_or_b64 exec, exec, s[0:1]
	s_and_saveexec_b64 s[0:1], s[20:21]
	s_cbranch_execz .LBB3_2
.LBB3_62:                               ;   in Loop: Header=BB3_3 Depth=1
	v_cmp_ne_u16_e32 vcc, s22, v12
	s_and_b64 exec, exec, vcc
	s_cbranch_execz .LBB3_2
; %bb.63:                               ;   in Loop: Header=BB3_3 Depth=1
	v_and_b32_e32 v20, 0xffff, v12
	v_and_b32_e32 v21, 7, v20
	v_ffbh_u32_e32 v23, v21
	v_subrev_u32_e32 v24, 28, v23
	v_bfe_u32 v22, v20, 3, 4
	v_lshlrev_b32_e32 v20, v24, v20
	v_sub_u32_e32 v23, 29, v23
	v_and_b32_e32 v20, 7, v20
	v_cmp_eq_u32_e32 vcc, 0, v22
	v_lshlrev_b32_e32 v19, 24, v12
	v_cndmask_b32_e32 v20, v21, v20, vcc
	v_cndmask_b32_e32 v21, v22, v23, vcc
	v_lshlrev_b32_e32 v20, 20, v20
	v_and_b32_e32 v19, 0x80000000, v19
	v_lshl_add_u32 v21, v21, 23, v11
	v_or3_b32 v19, v19, v21, v20
	v_cmp_class_f32_e64 s[2:3], v19, s23
	s_and_b64 exec, exec, s[2:3]
	s_cbranch_execz .LBB3_2
; %bb.64:                               ;   in Loop: Header=BB3_3 Depth=1
	global_store_dword v8, v10, s[10:11] offset:24
	s_branch .LBB3_2
.LBB3_65:
	s_or_b64 exec, exec, s[14:15]
.LBB3_66:
	s_or_b64 exec, exec, s[6:7]
	s_load_dword s0, s[4:5], 0x18
	s_waitcnt lgkmcnt(0)
	s_bitcmp1_b32 s0, 0
	s_cselect_b64 s[0:1], -1, 0
	s_and_b64 vcc, exec, s[0:1]
	s_cbranch_vccz .LBB3_104
; %bb.67:
	s_movk_i32 s0, 0x7f
	v_lshlrev_b32_e32 v1, 4, v0
	v_cmp_gt_i16_sdwa s[2:3], v7, s0 src0_sel:BYTE_0 src1_sel:DWORD
	s_mov_b64 s[0:1], 0
	ds_write_b64 v1, v[2:3]
	s_and_saveexec_b64 s[4:5], s[2:3]
	s_xor_b64 s[2:3], exec, s[4:5]
	s_cbranch_execnz .LBB3_105
; %bb.68:
	s_or_saveexec_b64 s[2:3], s[2:3]
	v_mov_b32_e32 v2, 0x7f800001
	s_xor_b64 exec, exec, s[2:3]
	s_cbranch_execnz .LBB3_108
.LBB3_69:
	s_or_b64 exec, exec, s[2:3]
	s_and_saveexec_b64 s[2:3], s[0:1]
	s_cbranch_execz .LBB3_71
.LBB3_70:
	v_and_b32_e32 v3, 7, v7
	v_ffbh_u32_e32 v4, v3
	v_lshrrev_b16_e32 v2, 3, v7
	v_subrev_u32_e32 v5, 28, v4
	v_and_b32_e32 v2, 15, v2
	v_lshlrev_b32_e32 v5, v5, v7
	v_sub_u32_e32 v4, 29, v4
	v_and_b32_e32 v5, 7, v5
	v_cmp_eq_u32_e32 vcc, 0, v2
	v_cndmask_b32_e32 v3, v3, v5, vcc
	v_cndmask_b32_e32 v2, v2, v4, vcc
	v_lshlrev_b32_e32 v4, 24, v7
	v_mov_b32_e32 v5, 0x3b800000
	v_lshlrev_b32_e32 v3, 20, v3
	v_and_b32_e32 v4, 0x80000000, v4
	v_lshl_add_u32 v2, v2, 23, v5
	v_or3_b32 v2, v4, v2, v3
.LBB3_71:
	s_or_b64 exec, exec, s[2:3]
	s_movk_i32 s0, 0x7f
	v_cmp_gt_i16_sdwa s[2:3], v6, s0 src0_sel:BYTE_0 src1_sel:DWORD
	s_mov_b64 s[0:1], 0
	ds_write_b32 v1, v2 offset:8
	s_and_saveexec_b64 s[4:5], s[2:3]
	s_xor_b64 s[2:3], exec, s[4:5]
	s_cbranch_execnz .LBB3_109
; %bb.72:
	s_or_saveexec_b64 s[2:3], s[2:3]
	v_mov_b32_e32 v2, 0x7f800001
	s_xor_b64 exec, exec, s[2:3]
	s_cbranch_execnz .LBB3_112
.LBB3_73:
	s_or_b64 exec, exec, s[2:3]
	s_and_saveexec_b64 s[2:3], s[0:1]
	s_cbranch_execz .LBB3_75
.LBB3_74:
	v_and_b32_e32 v3, 7, v6
	v_ffbh_u32_e32 v4, v3
	v_lshrrev_b16_e32 v2, 3, v6
	v_subrev_u32_e32 v5, 28, v4
	v_and_b32_e32 v2, 15, v2
	v_lshlrev_b32_e32 v5, v5, v6
	v_sub_u32_e32 v4, 29, v4
	v_and_b32_e32 v5, 7, v5
	v_cmp_eq_u32_e32 vcc, 0, v2
	v_cndmask_b32_e32 v3, v3, v5, vcc
	v_cndmask_b32_e32 v2, v2, v4, vcc
	v_lshlrev_b32_e32 v4, 24, v6
	v_mov_b32_e32 v5, 0x3b800000
	v_lshlrev_b32_e32 v3, 20, v3
	v_and_b32_e32 v4, 0x80000000, v4
	v_lshl_add_u32 v2, v2, 23, v5
	v_or3_b32 v2, v4, v2, v3
.LBB3_75:
	s_or_b64 exec, exec, s[2:3]
	s_movk_i32 s0, 0x80
	v_cmp_gt_u32_e32 vcc, s0, v0
	ds_write_b32 v1, v2 offset:12
	s_waitcnt vmcnt(0) lgkmcnt(0)
	s_barrier
	s_and_saveexec_b64 s[0:1], vcc
	s_cbranch_execz .LBB3_77
; %bb.76:
	ds_read_b128 v[2:5], v1 offset:2048
	ds_read_b128 v[6:9], v1
	s_waitcnt lgkmcnt(1)
	v_max_f32_e32 v4, v4, v4
	s_waitcnt lgkmcnt(0)
	v_add_f32_e32 v2, v2, v6
	v_max_f32_e32 v6, v8, v8
	v_min_f32_e32 v4, v6, v4
	v_max_f32_e32 v5, v5, v5
	v_max_f32_e32 v6, v9, v9
	v_add_f32_e32 v3, v3, v7
	v_max_f32_e32 v5, v6, v5
	ds_write_b128 v1, v[2:5]
.LBB3_77:
	s_or_b64 exec, exec, s[0:1]
	v_cmp_gt_u32_e32 vcc, 64, v0
	s_waitcnt lgkmcnt(0)
	s_barrier
	s_and_saveexec_b64 s[0:1], vcc
	s_cbranch_execz .LBB3_79
; %bb.78:
	ds_read_b128 v[2:5], v1 offset:1024
	ds_read_b128 v[6:9], v1
	s_waitcnt lgkmcnt(1)
	v_max_f32_e32 v4, v4, v4
	s_waitcnt lgkmcnt(0)
	v_add_f32_e32 v2, v2, v6
	v_max_f32_e32 v6, v8, v8
	v_min_f32_e32 v4, v6, v4
	v_max_f32_e32 v5, v5, v5
	v_max_f32_e32 v6, v9, v9
	v_add_f32_e32 v3, v3, v7
	v_max_f32_e32 v5, v6, v5
	ds_write_b128 v1, v[2:5]
.LBB3_79:
	s_or_b64 exec, exec, s[0:1]
	v_cmp_gt_u32_e32 vcc, 32, v0
	s_waitcnt lgkmcnt(0)
	;; [unrolled: 21-line block ×6, first 2 shown]
	s_barrier
	s_and_saveexec_b64 s[0:1], vcc
	s_cbranch_execz .LBB3_89
; %bb.88:
	ds_read_b128 v[2:5], v1
	ds_read_b128 v[6:9], v1 offset:32
	s_waitcnt lgkmcnt(1)
	v_max_f32_e32 v4, v4, v4
	s_waitcnt lgkmcnt(0)
	v_add_f32_e32 v2, v6, v2
	v_max_f32_e32 v6, v8, v8
	v_min_f32_e32 v4, v4, v6
	v_max_f32_e32 v6, v9, v9
	v_max_f32_e32 v5, v5, v5
	v_add_f32_e32 v3, v7, v3
	v_max_f32_e32 v5, v5, v6
	ds_write_b128 v1, v[2:5]
.LBB3_89:
	s_or_b64 exec, exec, s[0:1]
	v_cmp_eq_u32_e32 vcc, 0, v0
	s_waitcnt lgkmcnt(0)
	s_barrier
	s_and_saveexec_b64 s[0:1], vcc
	s_cbranch_execz .LBB3_91
; %bb.90:
	ds_read_b128 v[2:5], v1
	ds_read_b128 v[6:9], v1 offset:16
	s_waitcnt lgkmcnt(1)
	v_max_f32_e32 v4, v4, v4
	s_waitcnt lgkmcnt(0)
	v_max_f32_e32 v0, v8, v8
	v_min_f32_e32 v4, v4, v0
	v_max_f32_e32 v0, v9, v9
	v_max_f32_e32 v5, v5, v5
	v_add_f32_e32 v2, v6, v2
	v_add_f32_e32 v3, v7, v3
	v_max_f32_e32 v5, v5, v0
	ds_write_b128 v1, v[2:5]
.LBB3_91:
	s_or_b64 exec, exec, s[0:1]
	s_waitcnt lgkmcnt(0)
	s_barrier
	s_and_saveexec_b64 s[0:1], vcc
	s_cbranch_execz .LBB3_104
; %bb.92:
	s_mov_b64 s[2:3], exec
	v_mbcnt_lo_u32_b32 v0, s2, 0
	v_mbcnt_hi_u32_b32 v0, s3, v0
	v_cmp_eq_u32_e32 vcc, 0, v0
	s_and_saveexec_b64 s[0:1], vcc
	s_cbranch_execz .LBB3_95
; %bb.93:
	v_mov_b32_e32 v2, 0
	ds_read_b32 v0, v2
	s_load_dword s4, s[10:11], 0x0
	s_bcnt1_i32_b64 s5, s[2:3]
	v_cvt_f32_ubyte0_e32 v1, s5
	s_mov_b64 s[2:3], 0
	s_waitcnt lgkmcnt(0)
	v_mul_f32_e32 v3, v0, v1
	v_mov_b32_e32 v1, s4
.LBB3_94:                               ; =>This Inner Loop Header: Depth=1
	v_add_f32_e32 v0, v1, v3
	global_atomic_cmpswap v0, v2, v[0:1], s[10:11] glc
	s_waitcnt vmcnt(0)
	v_cmp_eq_u32_e32 vcc, v0, v1
	s_or_b64 s[2:3], vcc, s[2:3]
	v_mov_b32_e32 v1, v0
	s_andn2_b64 exec, exec, s[2:3]
	s_cbranch_execnz .LBB3_94
.LBB3_95:
	s_or_b64 exec, exec, s[0:1]
	s_mov_b64 s[2:3], exec
	v_mbcnt_lo_u32_b32 v0, s2, 0
	v_mbcnt_hi_u32_b32 v0, s3, v0
	v_cmp_eq_u32_e32 vcc, 0, v0
	s_and_saveexec_b64 s[0:1], vcc
	s_cbranch_execz .LBB3_98
; %bb.96:
	v_mov_b32_e32 v2, 0
	ds_read_b32 v0, v2 offset:4
	s_load_dword s4, s[10:11], 0x4
	s_bcnt1_i32_b64 s5, s[2:3]
	v_cvt_f32_ubyte0_e32 v1, s5
	s_mov_b64 s[2:3], 0
	s_waitcnt lgkmcnt(0)
	v_mul_f32_e32 v3, v0, v1
	v_mov_b32_e32 v1, s4
.LBB3_97:                               ; =>This Inner Loop Header: Depth=1
	v_add_f32_e32 v0, v1, v3
	global_atomic_cmpswap v0, v2, v[0:1], s[10:11] offset:4 glc
	s_waitcnt vmcnt(0)
	v_cmp_eq_u32_e32 vcc, v0, v1
	s_or_b64 s[2:3], vcc, s[2:3]
	v_mov_b32_e32 v1, v0
	s_andn2_b64 exec, exec, s[2:3]
	s_cbranch_execnz .LBB3_97
.LBB3_98:
	s_or_b64 exec, exec, s[0:1]
	v_mbcnt_lo_u32_b32 v0, exec_lo, 0
	v_mbcnt_hi_u32_b32 v0, exec_hi, v0
	v_cmp_eq_u32_e32 vcc, 0, v0
	s_and_saveexec_b64 s[0:1], vcc
	s_cbranch_execz .LBB3_101
; %bb.99:
	v_mov_b32_e32 v2, 0
	s_load_dword s4, s[10:11], 0x8
	ds_read_b32 v0, v2 offset:8
	s_mov_b64 s[2:3], 0
	s_waitcnt lgkmcnt(0)
	v_mov_b32_e32 v1, s4
	v_max_f32_e32 v3, v0, v0
.LBB3_100:                              ; =>This Inner Loop Header: Depth=1
	v_max_f32_e32 v0, v1, v1
	v_min_f32_e32 v0, v0, v3
	global_atomic_cmpswap v0, v2, v[0:1], s[10:11] offset:8 glc
	s_waitcnt vmcnt(0)
	v_cmp_eq_u32_e32 vcc, v0, v1
	s_or_b64 s[2:3], vcc, s[2:3]
	v_mov_b32_e32 v1, v0
	s_andn2_b64 exec, exec, s[2:3]
	s_cbranch_execnz .LBB3_100
.LBB3_101:
	s_or_b64 exec, exec, s[0:1]
	v_mbcnt_lo_u32_b32 v0, exec_lo, 0
	v_mbcnt_hi_u32_b32 v0, exec_hi, v0
	v_cmp_eq_u32_e32 vcc, 0, v0
	s_and_b64 exec, exec, vcc
	s_cbranch_execz .LBB3_104
; %bb.102:
	v_mov_b32_e32 v2, 0
	s_load_dword s2, s[10:11], 0xc
	ds_read_b32 v0, v2 offset:12
	s_mov_b64 s[0:1], 0
	s_waitcnt lgkmcnt(0)
	v_mov_b32_e32 v1, s2
	v_max_f32_e32 v3, v0, v0
.LBB3_103:                              ; =>This Inner Loop Header: Depth=1
	v_max_f32_e32 v0, v1, v1
	v_max_f32_e32 v0, v0, v3
	global_atomic_cmpswap v0, v2, v[0:1], s[10:11] offset:12 glc
	s_waitcnt vmcnt(0)
	v_cmp_eq_u32_e32 vcc, v0, v1
	s_or_b64 s[0:1], vcc, s[0:1]
	v_mov_b32_e32 v1, v0
	s_andn2_b64 exec, exec, s[0:1]
	s_cbranch_execnz .LBB3_103
.LBB3_104:
	s_endpgm
.LBB3_105:
	s_movk_i32 s0, 0x80
	v_cmp_eq_u16_sdwa s[6:7], v7, s0 src0_sel:BYTE_0 src1_sel:DWORD
	s_mov_b64 s[0:1], -1
	s_and_saveexec_b64 s[4:5], s[6:7]
; %bb.106:
	s_xor_b64 s[0:1], exec, -1
; %bb.107:
	s_or_b64 exec, exec, s[4:5]
	s_and_b64 s[0:1], s[0:1], exec
	s_or_saveexec_b64 s[2:3], s[2:3]
	v_mov_b32_e32 v2, 0x7f800001
	s_xor_b64 exec, exec, s[2:3]
	s_cbranch_execz .LBB3_69
.LBB3_108:
	s_mov_b32 s4, 0xffff
	v_mov_b32_e32 v3, 0
	v_and_b32_sdwa v2, s4, v7 dst_sel:DWORD dst_unused:UNUSED_PAD src0_sel:DWORD src1_sel:BYTE_0
	v_cmp_ne_u16_sdwa s[4:5], v7, v3 src0_sel:BYTE_0 src1_sel:DWORD
	s_andn2_b64 s[0:1], s[0:1], exec
	s_and_b64 s[4:5], s[4:5], exec
	s_or_b64 s[0:1], s[0:1], s[4:5]
	s_or_b64 exec, exec, s[2:3]
	s_and_saveexec_b64 s[2:3], s[0:1]
	s_cbranch_execnz .LBB3_70
	s_branch .LBB3_71
.LBB3_109:
	s_movk_i32 s0, 0x80
	v_cmp_eq_u16_sdwa s[6:7], v6, s0 src0_sel:BYTE_0 src1_sel:DWORD
	s_mov_b64 s[0:1], -1
	s_and_saveexec_b64 s[4:5], s[6:7]
; %bb.110:
	s_xor_b64 s[0:1], exec, -1
; %bb.111:
	s_or_b64 exec, exec, s[4:5]
	s_and_b64 s[0:1], s[0:1], exec
	s_or_saveexec_b64 s[2:3], s[2:3]
	v_mov_b32_e32 v2, 0x7f800001
	s_xor_b64 exec, exec, s[2:3]
	s_cbranch_execz .LBB3_73
.LBB3_112:
	s_mov_b32 s4, 0xffff
	v_mov_b32_e32 v3, 0
	v_and_b32_sdwa v2, s4, v6 dst_sel:DWORD dst_unused:UNUSED_PAD src0_sel:DWORD src1_sel:BYTE_0
	v_cmp_ne_u16_sdwa s[4:5], v6, v3 src0_sel:BYTE_0 src1_sel:DWORD
	s_andn2_b64 s[0:1], s[0:1], exec
	s_and_b64 s[4:5], s[4:5], exec
	s_or_b64 s[0:1], s[0:1], s[4:5]
	s_or_b64 exec, exec, s[2:3]
	s_and_saveexec_b64 s[2:3], s[0:1]
	s_cbranch_execnz .LBB3_74
	s_branch .LBB3_75
	.section	.rodata,"a",@progbits
	.p2align	6, 0x0
	.amdhsa_kernel check_numerics_fp8
		.amdhsa_group_segment_fixed_size 4096
		.amdhsa_private_segment_fixed_size 0
		.amdhsa_kernarg_size 288
		.amdhsa_user_sgpr_count 6
		.amdhsa_user_sgpr_private_segment_buffer 1
		.amdhsa_user_sgpr_dispatch_ptr 0
		.amdhsa_user_sgpr_queue_ptr 0
		.amdhsa_user_sgpr_kernarg_segment_ptr 1
		.amdhsa_user_sgpr_dispatch_id 0
		.amdhsa_user_sgpr_flat_scratch_init 0
		.amdhsa_user_sgpr_private_segment_size 0
		.amdhsa_uses_dynamic_stack 0
		.amdhsa_system_sgpr_private_segment_wavefront_offset 0
		.amdhsa_system_sgpr_workgroup_id_x 1
		.amdhsa_system_sgpr_workgroup_id_y 0
		.amdhsa_system_sgpr_workgroup_id_z 0
		.amdhsa_system_sgpr_workgroup_info 0
		.amdhsa_system_vgpr_workitem_id 0
		.amdhsa_next_free_vgpr 29
		.amdhsa_next_free_sgpr 61
		.amdhsa_reserve_vcc 1
		.amdhsa_reserve_flat_scratch 0
		.amdhsa_float_round_mode_32 0
		.amdhsa_float_round_mode_16_64 0
		.amdhsa_float_denorm_mode_32 3
		.amdhsa_float_denorm_mode_16_64 3
		.amdhsa_dx10_clamp 1
		.amdhsa_ieee_mode 1
		.amdhsa_fp16_overflow 0
		.amdhsa_exception_fp_ieee_invalid_op 0
		.amdhsa_exception_fp_denorm_src 0
		.amdhsa_exception_fp_ieee_div_zero 0
		.amdhsa_exception_fp_ieee_overflow 0
		.amdhsa_exception_fp_ieee_underflow 0
		.amdhsa_exception_fp_ieee_inexact 0
		.amdhsa_exception_int_div_zero 0
	.end_amdhsa_kernel
	.text
.Lfunc_end3:
	.size	check_numerics_fp8, .Lfunc_end3-check_numerics_fp8
                                        ; -- End function
	.set check_numerics_fp8.num_vgpr, 25
	.set check_numerics_fp8.num_agpr, 0
	.set check_numerics_fp8.numbered_sgpr, 24
	.set check_numerics_fp8.num_named_barrier, 0
	.set check_numerics_fp8.private_seg_size, 0
	.set check_numerics_fp8.uses_vcc, 1
	.set check_numerics_fp8.uses_flat_scratch, 0
	.set check_numerics_fp8.has_dyn_sized_stack, 0
	.set check_numerics_fp8.has_recursion, 0
	.set check_numerics_fp8.has_indirect_call, 0
	.section	.AMDGPU.csdata,"",@progbits
; Kernel info:
; codeLenInByte = 3840
; TotalNumSgprs: 28
; NumVgprs: 25
; ScratchSize: 0
; MemoryBound: 0
; FloatMode: 240
; IeeeMode: 1
; LDSByteSize: 4096 bytes/workgroup (compile time only)
; SGPRBlocks: 8
; VGPRBlocks: 7
; NumSGPRsForWavesPerEU: 65
; NumVGPRsForWavesPerEU: 29
; Occupancy: 8
; WaveLimiterHint : 0
; COMPUTE_PGM_RSRC2:SCRATCH_EN: 0
; COMPUTE_PGM_RSRC2:USER_SGPR: 6
; COMPUTE_PGM_RSRC2:TRAP_HANDLER: 0
; COMPUTE_PGM_RSRC2:TGID_X_EN: 1
; COMPUTE_PGM_RSRC2:TGID_Y_EN: 0
; COMPUTE_PGM_RSRC2:TGID_Z_EN: 0
; COMPUTE_PGM_RSRC2:TIDIG_COMP_CNT: 0
	.text
	.protected	check_numerics_bf8      ; -- Begin function check_numerics_bf8
	.globl	check_numerics_bf8
	.p2align	8
	.type	check_numerics_bf8,@function
check_numerics_bf8:                     ; @check_numerics_bf8
; %bb.0:
	s_load_dword s0, s[4:5], 0x20
	s_load_dwordx4 s[8:11], s[4:5], 0x8
	s_add_u32 s1, s4, 32
	s_addc_u32 s3, s5, 0
	v_mov_b32_e32 v2, 0
	s_waitcnt lgkmcnt(0)
	s_cmp_lt_u32 s6, s0
	s_cselect_b32 s2, 12, 18
	s_add_u32 s2, s1, s2
	s_addc_u32 s3, s3, 0
	global_load_ushort v8, v2, s[2:3]
	v_mov_b32_e32 v6, 4
	v_mov_b32_e32 v7, 0x7f
	;; [unrolled: 1-line block ×3, first 2 shown]
	s_waitcnt vmcnt(0)
	v_mul_lo_u32 v1, s6, v8
	v_add_u32_e32 v1, v1, v0
	v_cmp_gt_u64_e32 vcc, s[8:9], v[1:2]
	s_and_saveexec_b64 s[6:7], vcc
	s_cbranch_execz .LBB4_66
; %bb.1:
	s_load_dwordx2 s[12:13], s[4:5], 0x0
	v_mov_b32_e32 v5, v2
	v_mov_b32_e32 v4, v1
	v_mul_lo_u32 v1, s0, v8
	v_mov_b32_e32 v8, 0
	v_mov_b32_e32 v6, 4
	;; [unrolled: 1-line block ×3, first 2 shown]
	s_mov_b64 s[14:15], 0
	s_waitcnt lgkmcnt(0)
	v_mov_b32_e32 v9, s13
	s_movk_i32 s13, 0x7f
	s_movk_i32 s22, 0x80
	v_mov_b32_e32 v10, 1
	s_movk_i32 s23, 0x204
	v_mov_b32_e32 v11, 0x37800000
	v_mov_b32_e32 v2, 0
	;; [unrolled: 1-line block ×3, first 2 shown]
	s_branch .LBB4_3
.LBB4_2:                                ;   in Loop: Header=BB4_3 Depth=1
	s_or_b64 exec, exec, s[0:1]
	v_cmp_gt_f32_e32 vcc, v17, v18
	v_cndmask_b32_e32 v6, v12, v6, vcc
	v_cmp_lt_f32_e32 vcc, v15, v16
	v_cndmask_b32_e32 v7, v12, v7, vcc
	v_add_co_u32_e32 v4, vcc, v4, v1
	v_addc_co_u32_e32 v5, vcc, 0, v5, vcc
	v_cmp_le_u64_e32 vcc, s[8:9], v[4:5]
	v_add_f32_e32 v3, v3, v14
	s_or_b64 s[14:15], vcc, s[14:15]
	v_add_f32_e32 v2, v2, v13
	s_andn2_b64 exec, exec, s[14:15]
	s_cbranch_execz .LBB4_65
.LBB4_3:                                ; =>This Inner Loop Header: Depth=1
	v_add_co_u32_e32 v12, vcc, s12, v4
	v_addc_co_u32_e32 v13, vcc, v9, v5, vcc
	global_load_ubyte v12, v[12:13], off
	s_mov_b64 s[0:1], 0
	s_waitcnt vmcnt(0)
	v_cmp_lt_i16_e32 vcc, s13, v12
	s_and_saveexec_b64 s[2:3], vcc
	s_xor_b64 s[2:3], exec, s[2:3]
	s_cbranch_execz .LBB4_7
; %bb.4:                                ;   in Loop: Header=BB4_3 Depth=1
	v_cmp_eq_u16_e32 vcc, s22, v12
	s_mov_b64 s[0:1], -1
	s_and_saveexec_b64 s[16:17], vcc
; %bb.5:                                ;   in Loop: Header=BB4_3 Depth=1
	s_xor_b64 s[0:1], exec, -1
; %bb.6:                                ;   in Loop: Header=BB4_3 Depth=1
	s_or_b64 exec, exec, s[16:17]
	s_and_b64 s[0:1], s[0:1], exec
.LBB4_7:                                ;   in Loop: Header=BB4_3 Depth=1
	s_or_saveexec_b64 s[2:3], s[2:3]
	v_mov_b32_e32 v13, 0x7f800001
	v_cmp_ne_u16_e32 vcc, 0, v12
	s_xor_b64 exec, exec, s[2:3]
; %bb.8:                                ;   in Loop: Header=BB4_3 Depth=1
	s_andn2_b64 s[0:1], s[0:1], exec
	s_and_b64 s[16:17], vcc, exec
	v_mov_b32_e32 v13, 0
	s_or_b64 s[0:1], s[0:1], s[16:17]
; %bb.9:                                ;   in Loop: Header=BB4_3 Depth=1
	s_or_b64 exec, exec, s[2:3]
	s_and_saveexec_b64 s[2:3], s[0:1]
	s_cbranch_execz .LBB4_11
; %bb.10:                               ;   in Loop: Header=BB4_3 Depth=1
	v_and_b32_e32 v14, 0xffff, v12
	v_and_b32_e32 v15, 3, v14
	v_ffbh_u32_e32 v17, v15
	v_subrev_u32_e32 v18, 29, v17
	v_bfe_u32 v16, v14, 2, 5
	v_lshlrev_b32_e32 v14, v18, v14
	v_sub_u32_e32 v17, 30, v17
	v_and_b32_e32 v14, 3, v14
	v_cmp_eq_u32_e64 s[0:1], 0, v16
	v_lshlrev_b32_e32 v13, 24, v12
	v_cndmask_b32_e64 v14, v15, v14, s[0:1]
	v_cndmask_b32_e64 v15, v16, v17, s[0:1]
	v_lshlrev_b32_e32 v14, 21, v14
	v_and_b32_e32 v13, 0x80000000, v13
	v_lshl_add_u32 v15, v15, 23, v11
	v_or3_b32 v13, v13, v15, v14
.LBB4_11:                               ;   in Loop: Header=BB4_3 Depth=1
	s_or_b64 exec, exec, s[2:3]
	v_cmp_lt_i16_e64 s[0:1], s13, v12
	s_mov_b64 s[2:3], 0
	s_and_saveexec_b64 s[16:17], s[0:1]
	s_xor_b64 s[16:17], exec, s[16:17]
	s_cbranch_execnz .LBB4_37
; %bb.12:                               ;   in Loop: Header=BB4_3 Depth=1
	s_or_saveexec_b64 s[0:1], s[16:17]
	v_mov_b32_e32 v14, 0x7f800001
	s_xor_b64 exec, exec, s[0:1]
	s_cbranch_execnz .LBB4_40
.LBB4_13:                               ;   in Loop: Header=BB4_3 Depth=1
	s_or_b64 exec, exec, s[0:1]
	s_and_saveexec_b64 s[16:17], s[2:3]
	s_cbranch_execz .LBB4_15
.LBB4_14:                               ;   in Loop: Header=BB4_3 Depth=1
	v_and_b32_e32 v15, 0xffff, v12
	v_and_b32_e32 v16, 3, v15
	v_ffbh_u32_e32 v18, v16
	v_subrev_u32_e32 v19, 29, v18
	v_bfe_u32 v17, v15, 2, 5
	v_lshlrev_b32_e32 v15, v19, v15
	v_sub_u32_e32 v18, 30, v18
	v_and_b32_e32 v15, 3, v15
	v_cmp_eq_u32_e64 s[0:1], 0, v17
	v_lshlrev_b32_e32 v14, 24, v12
	v_cndmask_b32_e64 v15, v16, v15, s[0:1]
	v_cndmask_b32_e64 v16, v17, v18, s[0:1]
	v_lshlrev_b32_e32 v15, 21, v15
	v_and_b32_e32 v14, 0x80000000, v14
	v_lshl_add_u32 v16, v16, 23, v11
	v_or3_b32 v14, v14, v16, v15
	v_and_b32_e32 v14, 0x7fffffff, v14
.LBB4_15:                               ;   in Loop: Header=BB4_3 Depth=1
	s_or_b64 exec, exec, s[16:17]
	v_cmp_gt_i16_sdwa s[2:3], v7, s13 src0_sel:BYTE_0 src1_sel:DWORD
	s_mov_b64 s[0:1], 0
	s_and_saveexec_b64 s[16:17], s[2:3]
	s_xor_b64 s[2:3], exec, s[16:17]
	s_cbranch_execnz .LBB4_41
; %bb.16:                               ;   in Loop: Header=BB4_3 Depth=1
	s_or_saveexec_b64 s[2:3], s[2:3]
	v_mov_b32_e32 v15, 0x7f800001
	s_xor_b64 exec, exec, s[2:3]
	s_cbranch_execnz .LBB4_44
.LBB4_17:                               ;   in Loop: Header=BB4_3 Depth=1
	s_or_b64 exec, exec, s[2:3]
	s_and_saveexec_b64 s[2:3], s[0:1]
	s_cbranch_execz .LBB4_19
.LBB4_18:                               ;   in Loop: Header=BB4_3 Depth=1
	v_and_b32_e32 v16, 3, v7
	v_ffbh_u32_e32 v17, v16
	v_lshrrev_b16_e32 v15, 2, v7
	v_subrev_u32_e32 v18, 29, v17
	v_and_b32_e32 v15, 31, v15
	v_lshlrev_b32_e32 v18, v18, v7
	v_sub_u32_e32 v17, 30, v17
	v_and_b32_e32 v18, 3, v18
	v_cmp_eq_u32_e64 s[0:1], 0, v15
	v_cndmask_b32_e64 v16, v16, v18, s[0:1]
	v_cndmask_b32_e64 v15, v15, v17, s[0:1]
	v_lshlrev_b32_e32 v17, 24, v7
	v_lshlrev_b32_e32 v16, 21, v16
	v_and_b32_e32 v17, 0x80000000, v17
	v_lshl_add_u32 v15, v15, 23, v11
	v_or3_b32 v15, v17, v15, v16
.LBB4_19:                               ;   in Loop: Header=BB4_3 Depth=1
	s_or_b64 exec, exec, s[2:3]
	v_cmp_lt_i16_e64 s[0:1], s13, v12
	s_mov_b64 s[2:3], 0
	s_and_saveexec_b64 s[16:17], s[0:1]
	s_xor_b64 s[16:17], exec, s[16:17]
	s_cbranch_execnz .LBB4_45
; %bb.20:                               ;   in Loop: Header=BB4_3 Depth=1
	s_or_saveexec_b64 s[0:1], s[16:17]
	v_mov_b32_e32 v16, 0x7f800001
	s_xor_b64 exec, exec, s[0:1]
	s_cbranch_execnz .LBB4_48
.LBB4_21:                               ;   in Loop: Header=BB4_3 Depth=1
	s_or_b64 exec, exec, s[0:1]
	s_and_saveexec_b64 s[16:17], s[2:3]
	s_cbranch_execz .LBB4_23
.LBB4_22:                               ;   in Loop: Header=BB4_3 Depth=1
	v_and_b32_e32 v17, 0xffff, v12
	v_and_b32_e32 v18, 3, v17
	v_ffbh_u32_e32 v20, v18
	v_subrev_u32_e32 v21, 29, v20
	v_bfe_u32 v19, v17, 2, 5
	v_lshlrev_b32_e32 v17, v21, v17
	v_sub_u32_e32 v20, 30, v20
	v_and_b32_e32 v17, 3, v17
	v_cmp_eq_u32_e64 s[0:1], 0, v19
	v_lshlrev_b32_e32 v16, 24, v12
	v_cndmask_b32_e64 v17, v18, v17, s[0:1]
	v_cndmask_b32_e64 v18, v19, v20, s[0:1]
	v_lshlrev_b32_e32 v17, 21, v17
	v_and_b32_e32 v16, 0x80000000, v16
	v_lshl_add_u32 v18, v18, 23, v11
	v_or3_b32 v16, v16, v18, v17
.LBB4_23:                               ;   in Loop: Header=BB4_3 Depth=1
	s_or_b64 exec, exec, s[16:17]
	v_cmp_gt_i16_sdwa s[2:3], v6, s13 src0_sel:BYTE_0 src1_sel:DWORD
	s_mov_b64 s[0:1], 0
	s_and_saveexec_b64 s[16:17], s[2:3]
	s_xor_b64 s[2:3], exec, s[16:17]
	s_cbranch_execnz .LBB4_49
; %bb.24:                               ;   in Loop: Header=BB4_3 Depth=1
	s_or_saveexec_b64 s[2:3], s[2:3]
	v_mov_b32_e32 v17, 0x7f800001
	s_xor_b64 exec, exec, s[2:3]
	s_cbranch_execnz .LBB4_52
.LBB4_25:                               ;   in Loop: Header=BB4_3 Depth=1
	s_or_b64 exec, exec, s[2:3]
	s_and_saveexec_b64 s[2:3], s[0:1]
	s_cbranch_execz .LBB4_27
.LBB4_26:                               ;   in Loop: Header=BB4_3 Depth=1
	v_and_b32_e32 v18, 3, v6
	v_ffbh_u32_e32 v19, v18
	v_lshrrev_b16_e32 v17, 2, v6
	v_subrev_u32_e32 v20, 29, v19
	v_and_b32_e32 v17, 31, v17
	v_lshlrev_b32_e32 v20, v20, v6
	v_sub_u32_e32 v19, 30, v19
	v_and_b32_e32 v20, 3, v20
	v_cmp_eq_u32_e64 s[0:1], 0, v17
	v_cndmask_b32_e64 v18, v18, v20, s[0:1]
	v_cndmask_b32_e64 v17, v17, v19, s[0:1]
	v_lshlrev_b32_e32 v19, 24, v6
	v_lshlrev_b32_e32 v18, 21, v18
	v_and_b32_e32 v19, 0x80000000, v19
	v_lshl_add_u32 v17, v17, 23, v11
	v_or3_b32 v17, v19, v17, v18
.LBB4_27:                               ;   in Loop: Header=BB4_3 Depth=1
	s_or_b64 exec, exec, s[2:3]
	v_cmp_lt_i16_e64 s[0:1], s13, v12
	s_mov_b64 s[2:3], 0
	s_and_saveexec_b64 s[16:17], s[0:1]
	s_xor_b64 s[16:17], exec, s[16:17]
	s_cbranch_execnz .LBB4_53
; %bb.28:                               ;   in Loop: Header=BB4_3 Depth=1
	s_or_saveexec_b64 s[0:1], s[16:17]
	v_mov_b32_e32 v18, 0x7f800001
	s_xor_b64 exec, exec, s[0:1]
	s_cbranch_execnz .LBB4_56
.LBB4_29:                               ;   in Loop: Header=BB4_3 Depth=1
	s_or_b64 exec, exec, s[0:1]
	s_and_saveexec_b64 s[16:17], s[2:3]
	s_cbranch_execnz .LBB4_57
.LBB4_30:                               ;   in Loop: Header=BB4_3 Depth=1
	s_or_b64 exec, exec, s[16:17]
	v_cmp_ge_f32_e64 s[0:1], 0, v14
	s_and_saveexec_b64 s[2:3], s[0:1]
	s_cbranch_execz .LBB4_32
.LBB4_31:                               ;   in Loop: Header=BB4_3 Depth=1
	global_store_dword v8, v10, s[10:11] offset:16
.LBB4_32:                               ;   in Loop: Header=BB4_3 Depth=1
	s_or_b64 exec, exec, s[2:3]
	v_cmp_lt_i16_e64 s[2:3], s13, v12
	s_mov_b64 s[18:19], 0
	v_cmp_ne_u16_e64 s[0:1], s22, v12
	s_mov_b64 s[16:17], 0
	s_and_saveexec_b64 s[20:21], s[2:3]
	s_xor_b64 s[2:3], exec, s[20:21]
	s_cbranch_execnz .LBB4_58
; %bb.33:                               ;   in Loop: Header=BB4_3 Depth=1
	s_andn2_saveexec_b64 s[0:1], s[2:3]
	s_cbranch_execnz .LBB4_59
.LBB4_34:                               ;   in Loop: Header=BB4_3 Depth=1
	s_or_b64 exec, exec, s[0:1]
	s_mov_b64 s[20:21], 0
	s_and_saveexec_b64 s[2:3], s[18:19]
	s_cbranch_execnz .LBB4_60
.LBB4_35:                               ;   in Loop: Header=BB4_3 Depth=1
	s_or_b64 exec, exec, s[2:3]
	s_and_saveexec_b64 s[0:1], s[16:17]
	s_cbranch_execnz .LBB4_61
.LBB4_36:                               ;   in Loop: Header=BB4_3 Depth=1
	s_or_b64 exec, exec, s[0:1]
	s_and_saveexec_b64 s[0:1], s[20:21]
	s_cbranch_execz .LBB4_2
	s_branch .LBB4_62
.LBB4_37:                               ;   in Loop: Header=BB4_3 Depth=1
	v_cmp_eq_u16_e64 s[0:1], s22, v12
	s_mov_b64 s[2:3], -1
	s_and_saveexec_b64 s[18:19], s[0:1]
; %bb.38:                               ;   in Loop: Header=BB4_3 Depth=1
	s_xor_b64 s[2:3], exec, -1
; %bb.39:                               ;   in Loop: Header=BB4_3 Depth=1
	s_or_b64 exec, exec, s[18:19]
	s_and_b64 s[2:3], s[2:3], exec
	s_or_saveexec_b64 s[0:1], s[16:17]
	v_mov_b32_e32 v14, 0x7f800001
	s_xor_b64 exec, exec, s[0:1]
	s_cbranch_execz .LBB4_13
.LBB4_40:                               ;   in Loop: Header=BB4_3 Depth=1
	s_andn2_b64 s[2:3], s[2:3], exec
	s_and_b64 s[16:17], vcc, exec
	v_mov_b32_e32 v14, 0
	s_or_b64 s[2:3], s[2:3], s[16:17]
	s_or_b64 exec, exec, s[0:1]
	s_and_saveexec_b64 s[16:17], s[2:3]
	s_cbranch_execnz .LBB4_14
	s_branch .LBB4_15
.LBB4_41:                               ;   in Loop: Header=BB4_3 Depth=1
	v_cmp_eq_u16_sdwa s[18:19], v7, s22 src0_sel:BYTE_0 src1_sel:DWORD
	s_mov_b64 s[0:1], -1
	s_and_saveexec_b64 s[16:17], s[18:19]
; %bb.42:                               ;   in Loop: Header=BB4_3 Depth=1
	s_xor_b64 s[0:1], exec, -1
; %bb.43:                               ;   in Loop: Header=BB4_3 Depth=1
	s_or_b64 exec, exec, s[16:17]
	s_and_b64 s[0:1], s[0:1], exec
	s_or_saveexec_b64 s[2:3], s[2:3]
	v_mov_b32_e32 v15, 0x7f800001
	s_xor_b64 exec, exec, s[2:3]
	s_cbranch_execz .LBB4_17
.LBB4_44:                               ;   in Loop: Header=BB4_3 Depth=1
	v_cmp_ne_u16_sdwa s[16:17], v7, v8 src0_sel:BYTE_0 src1_sel:DWORD
	s_andn2_b64 s[0:1], s[0:1], exec
	s_and_b64 s[16:17], s[16:17], exec
	v_mov_b32_e32 v15, 0
	s_or_b64 s[0:1], s[0:1], s[16:17]
	s_or_b64 exec, exec, s[2:3]
	s_and_saveexec_b64 s[2:3], s[0:1]
	s_cbranch_execnz .LBB4_18
	s_branch .LBB4_19
.LBB4_45:                               ;   in Loop: Header=BB4_3 Depth=1
	v_cmp_eq_u16_e64 s[0:1], s22, v12
	s_mov_b64 s[2:3], -1
	s_and_saveexec_b64 s[18:19], s[0:1]
; %bb.46:                               ;   in Loop: Header=BB4_3 Depth=1
	s_xor_b64 s[2:3], exec, -1
; %bb.47:                               ;   in Loop: Header=BB4_3 Depth=1
	s_or_b64 exec, exec, s[18:19]
	s_and_b64 s[2:3], s[2:3], exec
	s_or_saveexec_b64 s[0:1], s[16:17]
	v_mov_b32_e32 v16, 0x7f800001
	s_xor_b64 exec, exec, s[0:1]
	s_cbranch_execz .LBB4_21
.LBB4_48:                               ;   in Loop: Header=BB4_3 Depth=1
	s_andn2_b64 s[2:3], s[2:3], exec
	s_and_b64 s[16:17], vcc, exec
	v_mov_b32_e32 v16, 0
	s_or_b64 s[2:3], s[2:3], s[16:17]
	s_or_b64 exec, exec, s[0:1]
	s_and_saveexec_b64 s[16:17], s[2:3]
	s_cbranch_execnz .LBB4_22
	s_branch .LBB4_23
.LBB4_49:                               ;   in Loop: Header=BB4_3 Depth=1
	v_cmp_eq_u16_sdwa s[18:19], v6, s22 src0_sel:BYTE_0 src1_sel:DWORD
	s_mov_b64 s[0:1], -1
	s_and_saveexec_b64 s[16:17], s[18:19]
; %bb.50:                               ;   in Loop: Header=BB4_3 Depth=1
	s_xor_b64 s[0:1], exec, -1
; %bb.51:                               ;   in Loop: Header=BB4_3 Depth=1
	s_or_b64 exec, exec, s[16:17]
	s_and_b64 s[0:1], s[0:1], exec
	s_or_saveexec_b64 s[2:3], s[2:3]
	v_mov_b32_e32 v17, 0x7f800001
	s_xor_b64 exec, exec, s[2:3]
	s_cbranch_execz .LBB4_25
.LBB4_52:                               ;   in Loop: Header=BB4_3 Depth=1
	v_cmp_ne_u16_sdwa s[16:17], v6, v8 src0_sel:BYTE_0 src1_sel:DWORD
	s_andn2_b64 s[0:1], s[0:1], exec
	s_and_b64 s[16:17], s[16:17], exec
	v_mov_b32_e32 v17, 0
	s_or_b64 s[0:1], s[0:1], s[16:17]
	s_or_b64 exec, exec, s[2:3]
	s_and_saveexec_b64 s[2:3], s[0:1]
	s_cbranch_execnz .LBB4_26
	s_branch .LBB4_27
.LBB4_53:                               ;   in Loop: Header=BB4_3 Depth=1
	v_cmp_eq_u16_e64 s[0:1], s22, v12
	s_mov_b64 s[2:3], -1
	s_and_saveexec_b64 s[18:19], s[0:1]
; %bb.54:                               ;   in Loop: Header=BB4_3 Depth=1
	s_xor_b64 s[2:3], exec, -1
; %bb.55:                               ;   in Loop: Header=BB4_3 Depth=1
	s_or_b64 exec, exec, s[18:19]
	s_and_b64 s[2:3], s[2:3], exec
	s_or_saveexec_b64 s[0:1], s[16:17]
	v_mov_b32_e32 v18, 0x7f800001
	s_xor_b64 exec, exec, s[0:1]
	s_cbranch_execz .LBB4_29
.LBB4_56:                               ;   in Loop: Header=BB4_3 Depth=1
	s_andn2_b64 s[2:3], s[2:3], exec
	s_and_b64 s[16:17], vcc, exec
	v_mov_b32_e32 v18, 0
	s_or_b64 s[2:3], s[2:3], s[16:17]
	s_or_b64 exec, exec, s[0:1]
	s_and_saveexec_b64 s[16:17], s[2:3]
	s_cbranch_execz .LBB4_30
.LBB4_57:                               ;   in Loop: Header=BB4_3 Depth=1
	v_and_b32_e32 v19, 0xffff, v12
	v_and_b32_e32 v20, 3, v19
	v_ffbh_u32_e32 v22, v20
	v_subrev_u32_e32 v23, 29, v22
	v_bfe_u32 v21, v19, 2, 5
	v_lshlrev_b32_e32 v19, v23, v19
	v_sub_u32_e32 v22, 30, v22
	v_and_b32_e32 v19, 3, v19
	v_cmp_eq_u32_e64 s[0:1], 0, v21
	v_lshlrev_b32_e32 v18, 24, v12
	v_cndmask_b32_e64 v19, v20, v19, s[0:1]
	v_cndmask_b32_e64 v20, v21, v22, s[0:1]
	v_lshlrev_b32_e32 v19, 21, v19
	v_and_b32_e32 v18, 0x80000000, v18
	v_lshl_add_u32 v20, v20, 23, v11
	v_or3_b32 v18, v18, v20, v19
	s_or_b64 exec, exec, s[16:17]
	v_cmp_ge_f32_e64 s[0:1], 0, v14
	s_and_saveexec_b64 s[2:3], s[0:1]
	s_cbranch_execnz .LBB4_31
	s_branch .LBB4_32
.LBB4_58:                               ;   in Loop: Header=BB4_3 Depth=1
	s_mov_b64 s[16:17], exec
	s_and_b64 s[18:19], s[0:1], exec
	s_andn2_saveexec_b64 s[0:1], s[2:3]
	s_cbranch_execz .LBB4_34
.LBB4_59:                               ;   in Loop: Header=BB4_3 Depth=1
	s_andn2_b64 s[2:3], s[18:19], exec
	s_and_b64 s[18:19], vcc, exec
	s_or_b64 s[18:19], s[2:3], s[18:19]
	s_or_b64 exec, exec, s[0:1]
	s_mov_b64 s[20:21], 0
	s_and_saveexec_b64 s[2:3], s[18:19]
	s_cbranch_execz .LBB4_35
.LBB4_60:                               ;   in Loop: Header=BB4_3 Depth=1
	v_and_b32_e32 v20, 0xffff, v12
	v_and_b32_e32 v21, 3, v20
	v_ffbh_u32_e32 v23, v21
	v_subrev_u32_e32 v24, 29, v23
	v_bfe_u32 v22, v20, 2, 5
	v_lshlrev_b32_e32 v20, v24, v20
	v_sub_u32_e32 v23, 30, v23
	v_and_b32_e32 v20, 3, v20
	v_cmp_eq_u32_e32 vcc, 0, v22
	v_lshlrev_b32_e32 v19, 24, v12
	v_cndmask_b32_e32 v20, v21, v20, vcc
	v_cndmask_b32_e32 v21, v22, v23, vcc
	v_lshlrev_b32_e32 v20, 21, v20
	v_and_b32_e32 v19, 0x80000000, v19
	v_lshl_add_u32 v21, v21, 23, v11
	v_or3_b32 v19, v19, v21, v20
	v_cmp_u_f32_e32 vcc, v19, v19
	v_cmp_o_f32_e64 s[0:1], v19, v19
	s_and_b64 s[20:21], s[0:1], exec
	s_andn2_b64 s[0:1], s[16:17], exec
	s_and_b64 s[16:17], vcc, exec
	s_or_b64 s[16:17], s[0:1], s[16:17]
	s_or_b64 exec, exec, s[2:3]
	s_and_saveexec_b64 s[0:1], s[16:17]
	s_cbranch_execz .LBB4_36
.LBB4_61:                               ;   in Loop: Header=BB4_3 Depth=1
	s_or_b64 s[20:21], s[20:21], exec
	global_store_dword v8, v10, s[10:11] offset:20
	s_or_b64 exec, exec, s[0:1]
	s_and_saveexec_b64 s[0:1], s[20:21]
	s_cbranch_execz .LBB4_2
.LBB4_62:                               ;   in Loop: Header=BB4_3 Depth=1
	v_cmp_ne_u16_e32 vcc, s22, v12
	s_and_b64 exec, exec, vcc
	s_cbranch_execz .LBB4_2
; %bb.63:                               ;   in Loop: Header=BB4_3 Depth=1
	v_and_b32_e32 v20, 0xffff, v12
	v_and_b32_e32 v21, 3, v20
	v_ffbh_u32_e32 v23, v21
	v_subrev_u32_e32 v24, 29, v23
	v_bfe_u32 v22, v20, 2, 5
	v_lshlrev_b32_e32 v20, v24, v20
	v_sub_u32_e32 v23, 30, v23
	v_and_b32_e32 v20, 3, v20
	v_cmp_eq_u32_e32 vcc, 0, v22
	v_lshlrev_b32_e32 v19, 24, v12
	v_cndmask_b32_e32 v20, v21, v20, vcc
	v_cndmask_b32_e32 v21, v22, v23, vcc
	v_lshlrev_b32_e32 v20, 21, v20
	v_and_b32_e32 v19, 0x80000000, v19
	v_lshl_add_u32 v21, v21, 23, v11
	v_or3_b32 v19, v19, v21, v20
	v_cmp_class_f32_e64 s[2:3], v19, s23
	s_and_b64 exec, exec, s[2:3]
	s_cbranch_execz .LBB4_2
; %bb.64:                               ;   in Loop: Header=BB4_3 Depth=1
	global_store_dword v8, v10, s[10:11] offset:24
	s_branch .LBB4_2
.LBB4_65:
	s_or_b64 exec, exec, s[14:15]
.LBB4_66:
	s_or_b64 exec, exec, s[6:7]
	s_load_dword s0, s[4:5], 0x18
	s_waitcnt lgkmcnt(0)
	s_bitcmp1_b32 s0, 0
	s_cselect_b64 s[0:1], -1, 0
	s_and_b64 vcc, exec, s[0:1]
	s_cbranch_vccz .LBB4_104
; %bb.67:
	s_movk_i32 s0, 0x7f
	v_lshlrev_b32_e32 v1, 4, v0
	v_cmp_gt_i16_sdwa s[2:3], v7, s0 src0_sel:BYTE_0 src1_sel:DWORD
	s_mov_b64 s[0:1], 0
	ds_write_b64 v1, v[2:3]
	s_and_saveexec_b64 s[4:5], s[2:3]
	s_xor_b64 s[2:3], exec, s[4:5]
	s_cbranch_execnz .LBB4_105
; %bb.68:
	s_or_saveexec_b64 s[2:3], s[2:3]
	v_mov_b32_e32 v2, 0x7f800001
	s_xor_b64 exec, exec, s[2:3]
	s_cbranch_execnz .LBB4_108
.LBB4_69:
	s_or_b64 exec, exec, s[2:3]
	s_and_saveexec_b64 s[2:3], s[0:1]
	s_cbranch_execz .LBB4_71
.LBB4_70:
	v_and_b32_e32 v3, 3, v7
	v_ffbh_u32_e32 v4, v3
	v_lshrrev_b16_e32 v2, 2, v7
	v_subrev_u32_e32 v5, 29, v4
	v_and_b32_e32 v2, 31, v2
	v_lshlrev_b32_e32 v5, v5, v7
	v_sub_u32_e32 v4, 30, v4
	v_and_b32_e32 v5, 3, v5
	v_cmp_eq_u32_e32 vcc, 0, v2
	v_cndmask_b32_e32 v3, v3, v5, vcc
	v_cndmask_b32_e32 v2, v2, v4, vcc
	v_lshlrev_b32_e32 v4, 24, v7
	v_mov_b32_e32 v5, 0x37800000
	v_lshlrev_b32_e32 v3, 21, v3
	v_and_b32_e32 v4, 0x80000000, v4
	v_lshl_add_u32 v2, v2, 23, v5
	v_or3_b32 v2, v4, v2, v3
.LBB4_71:
	s_or_b64 exec, exec, s[2:3]
	s_movk_i32 s0, 0x7f
	v_cmp_gt_i16_sdwa s[2:3], v6, s0 src0_sel:BYTE_0 src1_sel:DWORD
	s_mov_b64 s[0:1], 0
	ds_write_b32 v1, v2 offset:8
	s_and_saveexec_b64 s[4:5], s[2:3]
	s_xor_b64 s[2:3], exec, s[4:5]
	s_cbranch_execnz .LBB4_109
; %bb.72:
	s_or_saveexec_b64 s[2:3], s[2:3]
	v_mov_b32_e32 v2, 0x7f800001
	s_xor_b64 exec, exec, s[2:3]
	s_cbranch_execnz .LBB4_112
.LBB4_73:
	s_or_b64 exec, exec, s[2:3]
	s_and_saveexec_b64 s[2:3], s[0:1]
	s_cbranch_execz .LBB4_75
.LBB4_74:
	v_and_b32_e32 v3, 3, v6
	v_ffbh_u32_e32 v4, v3
	v_lshrrev_b16_e32 v2, 2, v6
	v_subrev_u32_e32 v5, 29, v4
	v_and_b32_e32 v2, 31, v2
	v_lshlrev_b32_e32 v5, v5, v6
	v_sub_u32_e32 v4, 30, v4
	v_and_b32_e32 v5, 3, v5
	v_cmp_eq_u32_e32 vcc, 0, v2
	v_cndmask_b32_e32 v3, v3, v5, vcc
	v_cndmask_b32_e32 v2, v2, v4, vcc
	v_lshlrev_b32_e32 v4, 24, v6
	v_mov_b32_e32 v5, 0x37800000
	v_lshlrev_b32_e32 v3, 21, v3
	v_and_b32_e32 v4, 0x80000000, v4
	v_lshl_add_u32 v2, v2, 23, v5
	v_or3_b32 v2, v4, v2, v3
.LBB4_75:
	s_or_b64 exec, exec, s[2:3]
	s_movk_i32 s0, 0x80
	v_cmp_gt_u32_e32 vcc, s0, v0
	ds_write_b32 v1, v2 offset:12
	s_waitcnt vmcnt(0) lgkmcnt(0)
	s_barrier
	s_and_saveexec_b64 s[0:1], vcc
	s_cbranch_execz .LBB4_77
; %bb.76:
	ds_read_b128 v[2:5], v1 offset:2048
	ds_read_b128 v[6:9], v1
	s_waitcnt lgkmcnt(1)
	v_max_f32_e32 v4, v4, v4
	s_waitcnt lgkmcnt(0)
	v_add_f32_e32 v2, v2, v6
	v_max_f32_e32 v6, v8, v8
	v_min_f32_e32 v4, v6, v4
	v_max_f32_e32 v5, v5, v5
	v_max_f32_e32 v6, v9, v9
	v_add_f32_e32 v3, v3, v7
	v_max_f32_e32 v5, v6, v5
	ds_write_b128 v1, v[2:5]
.LBB4_77:
	s_or_b64 exec, exec, s[0:1]
	v_cmp_gt_u32_e32 vcc, 64, v0
	s_waitcnt lgkmcnt(0)
	s_barrier
	s_and_saveexec_b64 s[0:1], vcc
	s_cbranch_execz .LBB4_79
; %bb.78:
	ds_read_b128 v[2:5], v1 offset:1024
	ds_read_b128 v[6:9], v1
	s_waitcnt lgkmcnt(1)
	v_max_f32_e32 v4, v4, v4
	s_waitcnt lgkmcnt(0)
	v_add_f32_e32 v2, v2, v6
	v_max_f32_e32 v6, v8, v8
	v_min_f32_e32 v4, v6, v4
	v_max_f32_e32 v5, v5, v5
	v_max_f32_e32 v6, v9, v9
	v_add_f32_e32 v3, v3, v7
	v_max_f32_e32 v5, v6, v5
	ds_write_b128 v1, v[2:5]
.LBB4_79:
	s_or_b64 exec, exec, s[0:1]
	v_cmp_gt_u32_e32 vcc, 32, v0
	s_waitcnt lgkmcnt(0)
	;; [unrolled: 21-line block ×6, first 2 shown]
	s_barrier
	s_and_saveexec_b64 s[0:1], vcc
	s_cbranch_execz .LBB4_89
; %bb.88:
	ds_read_b128 v[2:5], v1
	ds_read_b128 v[6:9], v1 offset:32
	s_waitcnt lgkmcnt(1)
	v_max_f32_e32 v4, v4, v4
	s_waitcnt lgkmcnt(0)
	v_add_f32_e32 v2, v6, v2
	v_max_f32_e32 v6, v8, v8
	v_min_f32_e32 v4, v4, v6
	v_max_f32_e32 v6, v9, v9
	v_max_f32_e32 v5, v5, v5
	v_add_f32_e32 v3, v7, v3
	v_max_f32_e32 v5, v5, v6
	ds_write_b128 v1, v[2:5]
.LBB4_89:
	s_or_b64 exec, exec, s[0:1]
	v_cmp_eq_u32_e32 vcc, 0, v0
	s_waitcnt lgkmcnt(0)
	s_barrier
	s_and_saveexec_b64 s[0:1], vcc
	s_cbranch_execz .LBB4_91
; %bb.90:
	ds_read_b128 v[2:5], v1
	ds_read_b128 v[6:9], v1 offset:16
	s_waitcnt lgkmcnt(1)
	v_max_f32_e32 v4, v4, v4
	s_waitcnt lgkmcnt(0)
	v_max_f32_e32 v0, v8, v8
	v_min_f32_e32 v4, v4, v0
	v_max_f32_e32 v0, v9, v9
	v_max_f32_e32 v5, v5, v5
	v_add_f32_e32 v2, v6, v2
	v_add_f32_e32 v3, v7, v3
	v_max_f32_e32 v5, v5, v0
	ds_write_b128 v1, v[2:5]
.LBB4_91:
	s_or_b64 exec, exec, s[0:1]
	s_waitcnt lgkmcnt(0)
	s_barrier
	s_and_saveexec_b64 s[0:1], vcc
	s_cbranch_execz .LBB4_104
; %bb.92:
	s_mov_b64 s[2:3], exec
	v_mbcnt_lo_u32_b32 v0, s2, 0
	v_mbcnt_hi_u32_b32 v0, s3, v0
	v_cmp_eq_u32_e32 vcc, 0, v0
	s_and_saveexec_b64 s[0:1], vcc
	s_cbranch_execz .LBB4_95
; %bb.93:
	v_mov_b32_e32 v2, 0
	ds_read_b32 v0, v2
	s_load_dword s4, s[10:11], 0x0
	s_bcnt1_i32_b64 s5, s[2:3]
	v_cvt_f32_ubyte0_e32 v1, s5
	s_mov_b64 s[2:3], 0
	s_waitcnt lgkmcnt(0)
	v_mul_f32_e32 v3, v0, v1
	v_mov_b32_e32 v1, s4
.LBB4_94:                               ; =>This Inner Loop Header: Depth=1
	v_add_f32_e32 v0, v1, v3
	global_atomic_cmpswap v0, v2, v[0:1], s[10:11] glc
	s_waitcnt vmcnt(0)
	v_cmp_eq_u32_e32 vcc, v0, v1
	s_or_b64 s[2:3], vcc, s[2:3]
	v_mov_b32_e32 v1, v0
	s_andn2_b64 exec, exec, s[2:3]
	s_cbranch_execnz .LBB4_94
.LBB4_95:
	s_or_b64 exec, exec, s[0:1]
	s_mov_b64 s[2:3], exec
	v_mbcnt_lo_u32_b32 v0, s2, 0
	v_mbcnt_hi_u32_b32 v0, s3, v0
	v_cmp_eq_u32_e32 vcc, 0, v0
	s_and_saveexec_b64 s[0:1], vcc
	s_cbranch_execz .LBB4_98
; %bb.96:
	v_mov_b32_e32 v2, 0
	ds_read_b32 v0, v2 offset:4
	s_load_dword s4, s[10:11], 0x4
	s_bcnt1_i32_b64 s5, s[2:3]
	v_cvt_f32_ubyte0_e32 v1, s5
	s_mov_b64 s[2:3], 0
	s_waitcnt lgkmcnt(0)
	v_mul_f32_e32 v3, v0, v1
	v_mov_b32_e32 v1, s4
.LBB4_97:                               ; =>This Inner Loop Header: Depth=1
	v_add_f32_e32 v0, v1, v3
	global_atomic_cmpswap v0, v2, v[0:1], s[10:11] offset:4 glc
	s_waitcnt vmcnt(0)
	v_cmp_eq_u32_e32 vcc, v0, v1
	s_or_b64 s[2:3], vcc, s[2:3]
	v_mov_b32_e32 v1, v0
	s_andn2_b64 exec, exec, s[2:3]
	s_cbranch_execnz .LBB4_97
.LBB4_98:
	s_or_b64 exec, exec, s[0:1]
	v_mbcnt_lo_u32_b32 v0, exec_lo, 0
	v_mbcnt_hi_u32_b32 v0, exec_hi, v0
	v_cmp_eq_u32_e32 vcc, 0, v0
	s_and_saveexec_b64 s[0:1], vcc
	s_cbranch_execz .LBB4_101
; %bb.99:
	v_mov_b32_e32 v2, 0
	s_load_dword s4, s[10:11], 0x8
	ds_read_b32 v0, v2 offset:8
	s_mov_b64 s[2:3], 0
	s_waitcnt lgkmcnt(0)
	v_mov_b32_e32 v1, s4
	v_max_f32_e32 v3, v0, v0
.LBB4_100:                              ; =>This Inner Loop Header: Depth=1
	v_max_f32_e32 v0, v1, v1
	v_min_f32_e32 v0, v0, v3
	global_atomic_cmpswap v0, v2, v[0:1], s[10:11] offset:8 glc
	s_waitcnt vmcnt(0)
	v_cmp_eq_u32_e32 vcc, v0, v1
	s_or_b64 s[2:3], vcc, s[2:3]
	v_mov_b32_e32 v1, v0
	s_andn2_b64 exec, exec, s[2:3]
	s_cbranch_execnz .LBB4_100
.LBB4_101:
	s_or_b64 exec, exec, s[0:1]
	v_mbcnt_lo_u32_b32 v0, exec_lo, 0
	v_mbcnt_hi_u32_b32 v0, exec_hi, v0
	v_cmp_eq_u32_e32 vcc, 0, v0
	s_and_b64 exec, exec, vcc
	s_cbranch_execz .LBB4_104
; %bb.102:
	v_mov_b32_e32 v2, 0
	s_load_dword s2, s[10:11], 0xc
	ds_read_b32 v0, v2 offset:12
	s_mov_b64 s[0:1], 0
	s_waitcnt lgkmcnt(0)
	v_mov_b32_e32 v1, s2
	v_max_f32_e32 v3, v0, v0
.LBB4_103:                              ; =>This Inner Loop Header: Depth=1
	v_max_f32_e32 v0, v1, v1
	v_max_f32_e32 v0, v0, v3
	global_atomic_cmpswap v0, v2, v[0:1], s[10:11] offset:12 glc
	s_waitcnt vmcnt(0)
	v_cmp_eq_u32_e32 vcc, v0, v1
	s_or_b64 s[0:1], vcc, s[0:1]
	v_mov_b32_e32 v1, v0
	s_andn2_b64 exec, exec, s[0:1]
	s_cbranch_execnz .LBB4_103
.LBB4_104:
	s_endpgm
.LBB4_105:
	s_movk_i32 s0, 0x80
	v_cmp_eq_u16_sdwa s[6:7], v7, s0 src0_sel:BYTE_0 src1_sel:DWORD
	s_mov_b64 s[0:1], -1
	s_and_saveexec_b64 s[4:5], s[6:7]
; %bb.106:
	s_xor_b64 s[0:1], exec, -1
; %bb.107:
	s_or_b64 exec, exec, s[4:5]
	s_and_b64 s[0:1], s[0:1], exec
	s_or_saveexec_b64 s[2:3], s[2:3]
	v_mov_b32_e32 v2, 0x7f800001
	s_xor_b64 exec, exec, s[2:3]
	s_cbranch_execz .LBB4_69
.LBB4_108:
	s_mov_b32 s4, 0xffff
	v_mov_b32_e32 v3, 0
	v_and_b32_sdwa v2, s4, v7 dst_sel:DWORD dst_unused:UNUSED_PAD src0_sel:DWORD src1_sel:BYTE_0
	v_cmp_ne_u16_sdwa s[4:5], v7, v3 src0_sel:BYTE_0 src1_sel:DWORD
	s_andn2_b64 s[0:1], s[0:1], exec
	s_and_b64 s[4:5], s[4:5], exec
	s_or_b64 s[0:1], s[0:1], s[4:5]
	s_or_b64 exec, exec, s[2:3]
	s_and_saveexec_b64 s[2:3], s[0:1]
	s_cbranch_execnz .LBB4_70
	s_branch .LBB4_71
.LBB4_109:
	s_movk_i32 s0, 0x80
	v_cmp_eq_u16_sdwa s[6:7], v6, s0 src0_sel:BYTE_0 src1_sel:DWORD
	s_mov_b64 s[0:1], -1
	s_and_saveexec_b64 s[4:5], s[6:7]
; %bb.110:
	s_xor_b64 s[0:1], exec, -1
; %bb.111:
	s_or_b64 exec, exec, s[4:5]
	s_and_b64 s[0:1], s[0:1], exec
	s_or_saveexec_b64 s[2:3], s[2:3]
	v_mov_b32_e32 v2, 0x7f800001
	s_xor_b64 exec, exec, s[2:3]
	s_cbranch_execz .LBB4_73
.LBB4_112:
	s_mov_b32 s4, 0xffff
	v_mov_b32_e32 v3, 0
	v_and_b32_sdwa v2, s4, v6 dst_sel:DWORD dst_unused:UNUSED_PAD src0_sel:DWORD src1_sel:BYTE_0
	v_cmp_ne_u16_sdwa s[4:5], v6, v3 src0_sel:BYTE_0 src1_sel:DWORD
	s_andn2_b64 s[0:1], s[0:1], exec
	s_and_b64 s[4:5], s[4:5], exec
	s_or_b64 s[0:1], s[0:1], s[4:5]
	s_or_b64 exec, exec, s[2:3]
	s_and_saveexec_b64 s[2:3], s[0:1]
	s_cbranch_execnz .LBB4_74
	s_branch .LBB4_75
	.section	.rodata,"a",@progbits
	.p2align	6, 0x0
	.amdhsa_kernel check_numerics_bf8
		.amdhsa_group_segment_fixed_size 4096
		.amdhsa_private_segment_fixed_size 0
		.amdhsa_kernarg_size 288
		.amdhsa_user_sgpr_count 6
		.amdhsa_user_sgpr_private_segment_buffer 1
		.amdhsa_user_sgpr_dispatch_ptr 0
		.amdhsa_user_sgpr_queue_ptr 0
		.amdhsa_user_sgpr_kernarg_segment_ptr 1
		.amdhsa_user_sgpr_dispatch_id 0
		.amdhsa_user_sgpr_flat_scratch_init 0
		.amdhsa_user_sgpr_private_segment_size 0
		.amdhsa_uses_dynamic_stack 0
		.amdhsa_system_sgpr_private_segment_wavefront_offset 0
		.amdhsa_system_sgpr_workgroup_id_x 1
		.amdhsa_system_sgpr_workgroup_id_y 0
		.amdhsa_system_sgpr_workgroup_id_z 0
		.amdhsa_system_sgpr_workgroup_info 0
		.amdhsa_system_vgpr_workitem_id 0
		.amdhsa_next_free_vgpr 29
		.amdhsa_next_free_sgpr 61
		.amdhsa_reserve_vcc 1
		.amdhsa_reserve_flat_scratch 0
		.amdhsa_float_round_mode_32 0
		.amdhsa_float_round_mode_16_64 0
		.amdhsa_float_denorm_mode_32 3
		.amdhsa_float_denorm_mode_16_64 3
		.amdhsa_dx10_clamp 1
		.amdhsa_ieee_mode 1
		.amdhsa_fp16_overflow 0
		.amdhsa_exception_fp_ieee_invalid_op 0
		.amdhsa_exception_fp_denorm_src 0
		.amdhsa_exception_fp_ieee_div_zero 0
		.amdhsa_exception_fp_ieee_overflow 0
		.amdhsa_exception_fp_ieee_underflow 0
		.amdhsa_exception_fp_ieee_inexact 0
		.amdhsa_exception_int_div_zero 0
	.end_amdhsa_kernel
	.text
.Lfunc_end4:
	.size	check_numerics_bf8, .Lfunc_end4-check_numerics_bf8
                                        ; -- End function
	.set check_numerics_bf8.num_vgpr, 25
	.set check_numerics_bf8.num_agpr, 0
	.set check_numerics_bf8.numbered_sgpr, 24
	.set check_numerics_bf8.num_named_barrier, 0
	.set check_numerics_bf8.private_seg_size, 0
	.set check_numerics_bf8.uses_vcc, 1
	.set check_numerics_bf8.uses_flat_scratch, 0
	.set check_numerics_bf8.has_dyn_sized_stack, 0
	.set check_numerics_bf8.has_recursion, 0
	.set check_numerics_bf8.has_indirect_call, 0
	.section	.AMDGPU.csdata,"",@progbits
; Kernel info:
; codeLenInByte = 3840
; TotalNumSgprs: 28
; NumVgprs: 25
; ScratchSize: 0
; MemoryBound: 0
; FloatMode: 240
; IeeeMode: 1
; LDSByteSize: 4096 bytes/workgroup (compile time only)
; SGPRBlocks: 8
; VGPRBlocks: 7
; NumSGPRsForWavesPerEU: 65
; NumVGPRsForWavesPerEU: 29
; Occupancy: 8
; WaveLimiterHint : 0
; COMPUTE_PGM_RSRC2:SCRATCH_EN: 0
; COMPUTE_PGM_RSRC2:USER_SGPR: 6
; COMPUTE_PGM_RSRC2:TRAP_HANDLER: 0
; COMPUTE_PGM_RSRC2:TGID_X_EN: 1
; COMPUTE_PGM_RSRC2:TGID_Y_EN: 0
; COMPUTE_PGM_RSRC2:TGID_Z_EN: 0
; COMPUTE_PGM_RSRC2:TIDIG_COMP_CNT: 0
	.section	.AMDGPU.gpr_maximums,"",@progbits
	.set amdgpu.max_num_vgpr, 0
	.set amdgpu.max_num_agpr, 0
	.set amdgpu.max_num_sgpr, 0
	.section	.AMDGPU.csdata,"",@progbits
	.type	__hip_cuid_4a300877836be459,@object ; @__hip_cuid_4a300877836be459
	.section	.bss,"aw",@nobits
	.globl	__hip_cuid_4a300877836be459
__hip_cuid_4a300877836be459:
	.byte	0                               ; 0x0
	.size	__hip_cuid_4a300877836be459, 1

	.ident	"AMD clang version 22.0.0git (https://github.com/RadeonOpenCompute/llvm-project roc-7.2.4 26084 f58b06dce1f9c15707c5f808fd002e18c2accf7e)"
	.section	".note.GNU-stack","",@progbits
	.addrsig
	.addrsig_sym __hip_cuid_4a300877836be459
	.amdgpu_metadata
---
amdhsa.kernels:
  - .args:
      - .actual_access:  read_only
        .address_space:  global
        .offset:         0
        .size:           8
        .value_kind:     global_buffer
      - .offset:         8
        .size:           8
        .value_kind:     by_value
      - .address_space:  global
        .offset:         16
        .size:           8
        .value_kind:     global_buffer
      - .offset:         24
        .size:           1
        .value_kind:     by_value
      - .offset:         32
        .size:           4
        .value_kind:     hidden_block_count_x
      - .offset:         36
        .size:           4
        .value_kind:     hidden_block_count_y
      - .offset:         40
        .size:           4
        .value_kind:     hidden_block_count_z
      - .offset:         44
        .size:           2
        .value_kind:     hidden_group_size_x
      - .offset:         46
        .size:           2
        .value_kind:     hidden_group_size_y
      - .offset:         48
        .size:           2
        .value_kind:     hidden_group_size_z
      - .offset:         50
        .size:           2
        .value_kind:     hidden_remainder_x
      - .offset:         52
        .size:           2
        .value_kind:     hidden_remainder_y
      - .offset:         54
        .size:           2
        .value_kind:     hidden_remainder_z
      - .offset:         72
        .size:           8
        .value_kind:     hidden_global_offset_x
      - .offset:         80
        .size:           8
        .value_kind:     hidden_global_offset_y
      - .offset:         88
        .size:           8
        .value_kind:     hidden_global_offset_z
      - .offset:         96
        .size:           2
        .value_kind:     hidden_grid_dims
    .group_segment_fixed_size: 4096
    .kernarg_segment_align: 8
    .kernarg_segment_size: 288
    .language:       OpenCL C
    .language_version:
      - 2
      - 0
    .max_flat_workgroup_size: 1024
    .name:           check_numerics_fp32
    .private_segment_fixed_size: 0
    .sgpr_count:     20
    .sgpr_spill_count: 0
    .symbol:         check_numerics_fp32.kd
    .uniform_work_group_size: 1
    .uses_dynamic_stack: false
    .vgpr_count:     15
    .vgpr_spill_count: 0
    .wavefront_size: 64
  - .args:
      - .actual_access:  read_only
        .address_space:  global
        .offset:         0
        .size:           8
        .value_kind:     global_buffer
      - .offset:         8
        .size:           8
        .value_kind:     by_value
      - .address_space:  global
        .offset:         16
        .size:           8
        .value_kind:     global_buffer
      - .offset:         24
        .size:           1
        .value_kind:     by_value
      - .offset:         32
        .size:           4
        .value_kind:     hidden_block_count_x
      - .offset:         36
        .size:           4
        .value_kind:     hidden_block_count_y
      - .offset:         40
        .size:           4
        .value_kind:     hidden_block_count_z
      - .offset:         44
        .size:           2
        .value_kind:     hidden_group_size_x
      - .offset:         46
        .size:           2
        .value_kind:     hidden_group_size_y
      - .offset:         48
        .size:           2
        .value_kind:     hidden_group_size_z
      - .offset:         50
        .size:           2
        .value_kind:     hidden_remainder_x
      - .offset:         52
        .size:           2
        .value_kind:     hidden_remainder_y
      - .offset:         54
        .size:           2
        .value_kind:     hidden_remainder_z
      - .offset:         72
        .size:           8
        .value_kind:     hidden_global_offset_x
      - .offset:         80
        .size:           8
        .value_kind:     hidden_global_offset_y
      - .offset:         88
        .size:           8
        .value_kind:     hidden_global_offset_z
      - .offset:         96
        .size:           2
        .value_kind:     hidden_grid_dims
    .group_segment_fixed_size: 4096
    .kernarg_segment_align: 8
    .kernarg_segment_size: 288
    .language:       OpenCL C
    .language_version:
      - 2
      - 0
    .max_flat_workgroup_size: 1024
    .name:           check_numerics_fp16
    .private_segment_fixed_size: 0
    .sgpr_count:     20
    .sgpr_spill_count: 0
    .symbol:         check_numerics_fp16.kd
    .uniform_work_group_size: 1
    .uses_dynamic_stack: false
    .vgpr_count:     16
    .vgpr_spill_count: 0
    .wavefront_size: 64
  - .args:
      - .actual_access:  read_only
        .address_space:  global
        .offset:         0
        .size:           8
        .value_kind:     global_buffer
      - .offset:         8
        .size:           8
        .value_kind:     by_value
      - .address_space:  global
        .offset:         16
        .size:           8
        .value_kind:     global_buffer
      - .offset:         24
        .size:           1
        .value_kind:     by_value
      - .offset:         32
        .size:           4
        .value_kind:     hidden_block_count_x
      - .offset:         36
        .size:           4
        .value_kind:     hidden_block_count_y
      - .offset:         40
        .size:           4
        .value_kind:     hidden_block_count_z
      - .offset:         44
        .size:           2
        .value_kind:     hidden_group_size_x
      - .offset:         46
        .size:           2
        .value_kind:     hidden_group_size_y
      - .offset:         48
        .size:           2
        .value_kind:     hidden_group_size_z
      - .offset:         50
        .size:           2
        .value_kind:     hidden_remainder_x
      - .offset:         52
        .size:           2
        .value_kind:     hidden_remainder_y
      - .offset:         54
        .size:           2
        .value_kind:     hidden_remainder_z
      - .offset:         72
        .size:           8
        .value_kind:     hidden_global_offset_x
      - .offset:         80
        .size:           8
        .value_kind:     hidden_global_offset_y
      - .offset:         88
        .size:           8
        .value_kind:     hidden_global_offset_z
      - .offset:         96
        .size:           2
        .value_kind:     hidden_grid_dims
    .group_segment_fixed_size: 4096
    .kernarg_segment_align: 8
    .kernarg_segment_size: 288
    .language:       OpenCL C
    .language_version:
      - 2
      - 0
    .max_flat_workgroup_size: 1024
    .name:           check_numerics_bf16
    .private_segment_fixed_size: 0
    .sgpr_count:     20
    .sgpr_spill_count: 0
    .symbol:         check_numerics_bf16.kd
    .uniform_work_group_size: 1
    .uses_dynamic_stack: false
    .vgpr_count:     18
    .vgpr_spill_count: 0
    .wavefront_size: 64
  - .args:
      - .actual_access:  read_only
        .address_space:  global
        .offset:         0
        .size:           8
        .value_kind:     global_buffer
      - .offset:         8
        .size:           8
        .value_kind:     by_value
      - .address_space:  global
        .offset:         16
        .size:           8
        .value_kind:     global_buffer
      - .offset:         24
        .size:           1
        .value_kind:     by_value
      - .offset:         32
        .size:           4
        .value_kind:     hidden_block_count_x
      - .offset:         36
        .size:           4
        .value_kind:     hidden_block_count_y
      - .offset:         40
        .size:           4
        .value_kind:     hidden_block_count_z
      - .offset:         44
        .size:           2
        .value_kind:     hidden_group_size_x
      - .offset:         46
        .size:           2
        .value_kind:     hidden_group_size_y
      - .offset:         48
        .size:           2
        .value_kind:     hidden_group_size_z
      - .offset:         50
        .size:           2
        .value_kind:     hidden_remainder_x
      - .offset:         52
        .size:           2
        .value_kind:     hidden_remainder_y
      - .offset:         54
        .size:           2
        .value_kind:     hidden_remainder_z
      - .offset:         72
        .size:           8
        .value_kind:     hidden_global_offset_x
      - .offset:         80
        .size:           8
        .value_kind:     hidden_global_offset_y
      - .offset:         88
        .size:           8
        .value_kind:     hidden_global_offset_z
      - .offset:         96
        .size:           2
        .value_kind:     hidden_grid_dims
    .group_segment_fixed_size: 4096
    .kernarg_segment_align: 8
    .kernarg_segment_size: 288
    .language:       OpenCL C
    .language_version:
      - 2
      - 0
    .max_flat_workgroup_size: 1024
    .name:           check_numerics_fp8
    .private_segment_fixed_size: 0
    .sgpr_count:     28
    .sgpr_spill_count: 0
    .symbol:         check_numerics_fp8.kd
    .uniform_work_group_size: 1
    .uses_dynamic_stack: false
    .vgpr_count:     25
    .vgpr_spill_count: 0
    .wavefront_size: 64
  - .args:
      - .actual_access:  read_only
        .address_space:  global
        .offset:         0
        .size:           8
        .value_kind:     global_buffer
      - .offset:         8
        .size:           8
        .value_kind:     by_value
      - .address_space:  global
        .offset:         16
        .size:           8
        .value_kind:     global_buffer
      - .offset:         24
        .size:           1
        .value_kind:     by_value
      - .offset:         32
        .size:           4
        .value_kind:     hidden_block_count_x
      - .offset:         36
        .size:           4
        .value_kind:     hidden_block_count_y
      - .offset:         40
        .size:           4
        .value_kind:     hidden_block_count_z
      - .offset:         44
        .size:           2
        .value_kind:     hidden_group_size_x
      - .offset:         46
        .size:           2
        .value_kind:     hidden_group_size_y
      - .offset:         48
        .size:           2
        .value_kind:     hidden_group_size_z
      - .offset:         50
        .size:           2
        .value_kind:     hidden_remainder_x
      - .offset:         52
        .size:           2
        .value_kind:     hidden_remainder_y
      - .offset:         54
        .size:           2
        .value_kind:     hidden_remainder_z
      - .offset:         72
        .size:           8
        .value_kind:     hidden_global_offset_x
      - .offset:         80
        .size:           8
        .value_kind:     hidden_global_offset_y
      - .offset:         88
        .size:           8
        .value_kind:     hidden_global_offset_z
      - .offset:         96
        .size:           2
        .value_kind:     hidden_grid_dims
    .group_segment_fixed_size: 4096
    .kernarg_segment_align: 8
    .kernarg_segment_size: 288
    .language:       OpenCL C
    .language_version:
      - 2
      - 0
    .max_flat_workgroup_size: 1024
    .name:           check_numerics_bf8
    .private_segment_fixed_size: 0
    .sgpr_count:     28
    .sgpr_spill_count: 0
    .symbol:         check_numerics_bf8.kd
    .uniform_work_group_size: 1
    .uses_dynamic_stack: false
    .vgpr_count:     25
    .vgpr_spill_count: 0
    .wavefront_size: 64
amdhsa.target:   amdgcn-amd-amdhsa--gfx906
amdhsa.version:
  - 1
  - 2
...

	.end_amdgpu_metadata
